;; amdgpu-corpus repo=ROCm/rocFFT kind=compiled arch=gfx906 opt=O3
	.text
	.amdgcn_target "amdgcn-amd-amdhsa--gfx906"
	.amdhsa_code_object_version 6
	.protected	bluestein_single_fwd_len2187_dim1_dp_op_CI_CI ; -- Begin function bluestein_single_fwd_len2187_dim1_dp_op_CI_CI
	.globl	bluestein_single_fwd_len2187_dim1_dp_op_CI_CI
	.p2align	8
	.type	bluestein_single_fwd_len2187_dim1_dp_op_CI_CI,@function
bluestein_single_fwd_len2187_dim1_dp_op_CI_CI: ; @bluestein_single_fwd_len2187_dim1_dp_op_CI_CI
; %bb.0:
	s_load_dwordx4 s[16:19], s[4:5], 0x28
	v_mul_u32_u24_e32 v1, 0x10e, v0
	v_add_u32_sdwa v172, s6, v1 dst_sel:DWORD dst_unused:UNUSED_PAD src0_sel:DWORD src1_sel:WORD_1
	v_mov_b32_e32 v173, 0
	s_waitcnt lgkmcnt(0)
	v_cmp_gt_u64_e32 vcc, s[16:17], v[172:173]
	s_and_saveexec_b64 s[0:1], vcc
	s_cbranch_execz .LBB0_2
; %bb.1:
	s_load_dwordx4 s[0:3], s[4:5], 0x18
	s_load_dwordx4 s[8:11], s[4:5], 0x0
	s_movk_i32 s16, 0xf3
	v_mul_lo_u16_sdwa v1, v1, s16 dst_sel:DWORD dst_unused:UNUSED_PAD src0_sel:WORD_1 src1_sel:DWORD
	v_sub_u16_e32 v175, v0, v1
	s_waitcnt lgkmcnt(0)
	s_load_dwordx4 s[12:15], s[0:1], 0x0
	v_lshlrev_b32_e32 v173, 4, v175
	s_movk_i32 s6, 0x5000
	v_mov_b32_e32 v174, 0xffffb410
	v_mov_b32_e32 v161, s11
	s_waitcnt lgkmcnt(0)
	v_mad_u64_u32 v[0:1], s[0:1], s14, v172, 0
	v_mad_u64_u32 v[2:3], s[0:1], s12, v175, 0
	s_movk_i32 s14, 0x2000
	s_load_dwordx2 s[4:5], s[4:5], 0x38
	v_mad_u64_u32 v[4:5], s[0:1], s15, v172, v[1:2]
	v_mad_u64_u32 v[5:6], s[0:1], s13, v175, v[3:4]
	v_mov_b32_e32 v1, v4
	v_lshlrev_b64 v[0:1], 4, v[0:1]
	v_mov_b32_e32 v6, s19
	v_mov_b32_e32 v3, v5
	v_add_co_u32_e32 v4, vcc, s18, v0
	v_addc_co_u32_e32 v5, vcc, v6, v1, vcc
	v_lshlrev_b64 v[0:1], 4, v[2:3]
	v_mov_b32_e32 v2, s9
	v_add_co_u32_e32 v0, vcc, v4, v0
	v_addc_co_u32_e32 v1, vcc, v5, v1, vcc
	v_add_co_u32_e32 v176, vcc, s8, v173
	s_mul_i32 s0, s13, 0x2d90
	s_mul_hi_u32 s1, s12, 0x2d90
	v_addc_co_u32_e32 v177, vcc, 0, v2, vcc
	s_add_i32 s0, s1, s0
	s_mul_i32 s1, s12, 0x2d90
	v_mov_b32_e32 v2, s0
	v_add_co_u32_e32 v4, vcc, s1, v0
	v_addc_co_u32_e32 v5, vcc, v1, v2, vcc
	global_load_dwordx4 v[36:39], v[0:1], off
	global_load_dwordx4 v[40:43], v[4:5], off
	v_add_co_u32_e32 v0, vcc, s14, v176
	v_addc_co_u32_e32 v1, vcc, 0, v177, vcc
	v_mov_b32_e32 v6, s0
	v_add_co_u32_e32 v4, vcc, s1, v4
	v_addc_co_u32_e32 v5, vcc, v5, v6, vcc
	v_add_co_u32_e32 v6, vcc, s6, v176
	v_mad_u64_u32 v[12:13], s[6:7], s12, v174, v[4:5]
	s_mul_i32 s6, s13, 0xffffb410
	s_sub_i32 s13, s6, s12
	v_addc_co_u32_e32 v7, vcc, 0, v177, vcc
	v_add_u32_e32 v13, s13, v13
	global_load_dwordx4 v[0:3], v[0:1], off offset:3472
	v_mov_b32_e32 v14, s0
	global_load_dwordx4 v[44:47], v[4:5], off
	v_add_co_u32_e32 v16, vcc, s1, v12
	global_load_dwordx4 v[4:7], v[6:7], off offset:2848
	s_nop 0
	global_load_dwordx4 v[48:51], v[12:13], off
	global_load_dwordx4 v[32:35], v173, s[8:9]
	global_load_dwordx4 v[8:11], v173, s[8:9] offset:3888
	v_addc_co_u32_e32 v17, vcc, v13, v14, vcc
	s_movk_i32 s6, 0x3000
	v_add_co_u32_e32 v12, vcc, s6, v176
	v_addc_co_u32_e32 v13, vcc, 0, v177, vcc
	global_load_dwordx4 v[52:55], v[16:17], off
	v_mov_b32_e32 v18, s0
	v_add_co_u32_e32 v16, vcc, s1, v16
	v_addc_co_u32_e32 v17, vcc, v17, v18, vcc
	global_load_dwordx4 v[56:59], v[16:17], off
	s_movk_i32 s8, 0x6000
	v_mad_u64_u32 v[16:17], s[6:7], s12, v174, v[16:17]
	v_add_co_u32_e32 v18, vcc, s8, v176
	global_load_dwordx4 v[12:15], v[12:13], off offset:3264
	v_addc_co_u32_e32 v19, vcc, 0, v177, vcc
	s_movk_i32 s6, 0x1000
	v_add_co_u32_e32 v28, vcc, s6, v176
	v_add_u32_e32 v17, s13, v17
	v_addc_co_u32_e32 v29, vcc, 0, v177, vcc
	global_load_dwordx4 v[60:63], v[16:17], off
	global_load_dwordx4 v[24:27], v[18:19], off offset:2640
	global_load_dwordx4 v[20:23], v[28:29], off offset:3680
	v_mov_b32_e32 v18, s0
	v_add_co_u32_e32 v28, vcc, s1, v16
	v_addc_co_u32_e32 v29, vcc, v17, v18, vcc
	s_movk_i32 s6, 0x4000
	v_add_co_u32_e32 v16, vcc, s6, v176
	v_addc_co_u32_e32 v17, vcc, 0, v177, vcc
	global_load_dwordx4 v[64:67], v[28:29], off
	v_mov_b32_e32 v30, s0
	v_add_co_u32_e32 v28, vcc, s1, v28
	v_addc_co_u32_e32 v29, vcc, v29, v30, vcc
	s_movk_i32 s0, 0x7000
	global_load_dwordx4 v[68:71], v[28:29], off
	v_add_co_u32_e32 v28, vcc, s0, v176
	global_load_dwordx4 v[16:19], v[16:17], off offset:3056
	v_addc_co_u32_e32 v29, vcc, 0, v177, vcc
	global_load_dwordx4 v[28:31], v[28:29], off offset:2432
	s_load_dwordx4 s[0:3], s[2:3], 0x0
	s_movk_i32 s6, 0x1e6
	v_add_co_u32_e32 v160, vcc, s6, v175
	s_mov_b32 s6, 0xe8584caa
	s_mov_b32 s7, 0x3febb67a
	;; [unrolled: 1-line block ×4, first 2 shown]
	v_add_co_u32_e32 v156, vcc, s16, v175
	s_movk_i32 s12, 0xab
	s_waitcnt vmcnt(11)
	v_mul_f64 v[72:73], v[38:39], v[34:35]
	v_mul_f64 v[74:75], v[36:37], v[34:35]
	s_waitcnt vmcnt(10)
	v_mul_f64 v[76:77], v[50:51], v[10:11]
	v_mul_f64 v[78:79], v[48:49], v[10:11]
	v_fma_f64 v[36:37], v[36:37], v[32:33], v[72:73]
	v_fma_f64 v[38:39], v[38:39], v[32:33], -v[74:75]
	v_mul_f64 v[72:73], v[46:47], v[6:7]
	v_mul_f64 v[74:75], v[44:45], v[6:7]
	ds_write_b128 v173, v[36:39]
	v_mul_f64 v[36:37], v[42:43], v[2:3]
	v_mul_f64 v[38:39], v[40:41], v[2:3]
	s_waitcnt vmcnt(7)
	v_mul_f64 v[80:81], v[54:55], v[14:15]
	v_mul_f64 v[82:83], v[52:53], v[14:15]
	v_fma_f64 v[36:37], v[40:41], v[0:1], v[36:37]
	v_fma_f64 v[38:39], v[42:43], v[0:1], -v[38:39]
	v_fma_f64 v[40:41], v[44:45], v[4:5], v[72:73]
	v_fma_f64 v[42:43], v[46:47], v[4:5], -v[74:75]
	;; [unrolled: 2-line block ×4, first 2 shown]
	s_waitcnt vmcnt(5)
	v_mul_f64 v[52:53], v[58:59], v[26:27]
	v_mul_f64 v[54:55], v[56:57], v[26:27]
	s_waitcnt vmcnt(4)
	v_mul_f64 v[72:73], v[62:63], v[22:23]
	v_mul_f64 v[74:75], v[60:61], v[22:23]
	v_fma_f64 v[52:53], v[56:57], v[24:25], v[52:53]
	v_fma_f64 v[54:55], v[58:59], v[24:25], -v[54:55]
	v_fma_f64 v[56:57], v[60:61], v[20:21], v[72:73]
	v_fma_f64 v[58:59], v[62:63], v[20:21], -v[74:75]
	s_waitcnt vmcnt(1)
	v_mul_f64 v[76:77], v[66:67], v[18:19]
	v_mul_f64 v[78:79], v[64:65], v[18:19]
	s_waitcnt vmcnt(0)
	v_mul_f64 v[80:81], v[70:71], v[30:31]
	v_mul_f64 v[82:83], v[68:69], v[30:31]
	v_fma_f64 v[60:61], v[64:65], v[16:17], v[76:77]
	v_fma_f64 v[62:63], v[66:67], v[16:17], -v[78:79]
	v_fma_f64 v[64:65], v[68:69], v[28:29], v[80:81]
	v_fma_f64 v[66:67], v[70:71], v[28:29], -v[82:83]
	ds_write_b128 v173, v[36:39] offset:11664
	ds_write_b128 v173, v[40:43] offset:23328
	;; [unrolled: 1-line block ×8, first 2 shown]
	s_waitcnt lgkmcnt(0)
	s_barrier
	ds_read_b128 v[36:39], v173 offset:11664
	ds_read_b128 v[40:43], v173 offset:23328
	;; [unrolled: 1-line block ×4, first 2 shown]
	ds_read_b128 v[52:55], v173
	ds_read_b128 v[56:59], v173 offset:3888
	s_waitcnt lgkmcnt(4)
	v_add_f64 v[60:61], v[36:37], v[40:41]
	v_add_f64 v[78:79], v[38:39], v[42:43]
	v_add_f64 v[76:77], v[38:39], -v[42:43]
	s_waitcnt lgkmcnt(1)
	v_add_f64 v[72:73], v[52:53], v[36:37]
	v_add_f64 v[38:39], v[54:55], v[38:39]
	v_fma_f64 v[74:75], v[60:61], -0.5, v[52:53]
	ds_read_b128 v[60:63], v173 offset:15552
	ds_read_b128 v[64:67], v173 offset:19440
	v_fma_f64 v[78:79], v[78:79], -0.5, v[54:55]
	v_add_f64 v[52:53], v[72:73], v[40:41]
	v_add_f64 v[40:41], v[36:37], -v[40:41]
	s_waitcnt lgkmcnt(1)
	v_add_f64 v[80:81], v[60:61], v[44:45]
	v_add_f64 v[84:85], v[62:63], -v[46:47]
	ds_read_b128 v[68:71], v173 offset:31104
	v_fma_f64 v[72:73], v[76:77], s[6:7], v[74:75]
	v_add_f64 v[82:83], v[56:57], v[60:61]
	v_fma_f64 v[36:37], v[76:77], s[8:9], v[74:75]
	v_add_f64 v[54:55], v[38:39], v[42:43]
	v_add_f64 v[42:43], v[62:63], v[46:47]
	v_fma_f64 v[80:81], v[80:81], -0.5, v[56:57]
	v_fma_f64 v[74:75], v[40:41], s[8:9], v[78:79]
	v_fma_f64 v[38:39], v[40:41], s[6:7], v[78:79]
	s_waitcnt lgkmcnt(0)
	v_add_f64 v[78:79], v[64:65], v[68:69]
	v_add_f64 v[40:41], v[82:83], v[44:45]
	v_add_f64 v[62:63], v[58:59], v[62:63]
	v_add_f64 v[44:45], v[60:61], -v[44:45]
	v_add_f64 v[60:61], v[48:49], v[64:65]
	v_fma_f64 v[56:57], v[84:85], s[6:7], v[80:81]
	v_fma_f64 v[76:77], v[84:85], s[8:9], v[80:81]
	v_add_f64 v[80:81], v[66:67], v[70:71]
	v_add_f64 v[64:65], v[64:65], -v[68:69]
	v_fma_f64 v[82:83], v[42:43], -0.5, v[58:59]
	v_add_f64 v[86:87], v[66:67], -v[70:71]
	v_add_f64 v[66:67], v[50:51], v[66:67]
	v_fma_f64 v[84:85], v[78:79], -0.5, v[48:49]
	v_add_f64 v[42:43], v[62:63], v[46:47]
	v_fma_f64 v[80:81], v[80:81], -0.5, v[50:51]
	s_barrier
	v_fma_f64 v[58:59], v[44:45], s[8:9], v[82:83]
	v_fma_f64 v[78:79], v[44:45], s[6:7], v[82:83]
	v_add_f64 v[44:45], v[60:61], v[68:69]
	v_add_f64 v[46:47], v[66:67], v[70:71]
	v_fma_f64 v[48:49], v[86:87], s[6:7], v[84:85]
	v_fma_f64 v[50:51], v[64:65], s[8:9], v[80:81]
	;; [unrolled: 1-line block ×3, first 2 shown]
	v_mul_lo_u16_e32 v64, 3, v175
	v_lshlrev_b32_e32 v178, 4, v64
	ds_write_b128 v178, v[52:55]
	ds_write_b128 v178, v[72:75] offset:16
	ds_write_b128 v178, v[36:39] offset:32
	v_mul_u32_u24_e32 v36, 3, v156
	v_fma_f64 v[60:61], v[86:87], s[8:9], v[84:85]
	v_lshlrev_b32_e32 v179, 4, v36
	v_mul_u32_u24_e32 v36, 3, v160
	v_lshlrev_b32_e32 v180, 4, v36
	v_mul_lo_u16_sdwa v36, v175, s12 dst_sel:DWORD dst_unused:UNUSED_PAD src0_sel:BYTE_0 src1_sel:DWORD
	v_lshrrev_b16_e32 v110, 9, v36
	v_mul_lo_u16_e32 v36, 3, v110
	v_sub_u16_e32 v36, v175, v36
	v_and_b32_e32 v111, 0xff, v36
	ds_write_b128 v179, v[40:43]
	ds_write_b128 v179, v[56:59] offset:16
	ds_write_b128 v179, v[76:79] offset:32
	ds_write_b128 v180, v[44:47]
	ds_write_b128 v180, v[48:51] offset:16
	ds_write_b128 v180, v[60:63] offset:32
	v_lshlrev_b32_e32 v44, 5, v111
	s_waitcnt lgkmcnt(0)
	s_barrier
	global_load_dwordx4 v[40:43], v44, s[10:11]
	global_load_dwordx4 v[36:39], v44, s[10:11] offset:16
	s_mov_b32 s12, 0xaaab
	v_mul_u32_u24_sdwa v44, v156, s12 dst_sel:DWORD dst_unused:UNUSED_PAD src0_sel:WORD_0 src1_sel:DWORD
	v_lshrrev_b32_e32 v112, 17, v44
	v_mul_lo_u16_e32 v44, 3, v112
	v_sub_u16_e32 v113, v156, v44
	v_lshlrev_b16_e32 v44, 1, v113
	v_lshlrev_b32_e32 v48, 4, v44
	global_load_dwordx4 v[44:47], v48, s[10:11] offset:16
	global_load_dwordx4 v[52:55], v48, s[10:11]
	v_mul_u32_u24_sdwa v48, v160, s12 dst_sel:DWORD dst_unused:UNUSED_PAD src0_sel:WORD_0 src1_sel:DWORD
	v_lshrrev_b32_e32 v114, 17, v48
	v_mul_lo_u16_e32 v48, 3, v114
	v_sub_u16_e32 v115, v160, v48
	v_lshlrev_b16_e32 v48, 1, v115
	v_lshlrev_b32_e32 v60, 4, v48
	global_load_dwordx4 v[56:59], v60, s[10:11]
	global_load_dwordx4 v[48:51], v60, s[10:11] offset:16
	ds_read_b128 v[60:63], v173 offset:11664
	ds_read_b128 v[64:67], v173
	ds_read_b128 v[68:71], v173 offset:3888
	ds_read_b128 v[72:75], v173 offset:7776
	;; [unrolled: 1-line block ×7, first 2 shown]
	s_waitcnt vmcnt(0) lgkmcnt(0)
	s_barrier
	s_mov_b32 s12, 0xe38f
	v_mul_f64 v[96:97], v[62:63], v[42:43]
	v_mul_f64 v[98:99], v[60:61], v[42:43]
	v_mul_f64 v[100:101], v[78:79], v[38:39]
	v_mul_f64 v[102:103], v[76:77], v[38:39]
	v_fma_f64 v[60:61], v[60:61], v[40:41], -v[96:97]
	v_mul_f64 v[96:97], v[86:87], v[54:55]
	v_fma_f64 v[62:63], v[62:63], v[40:41], v[98:99]
	v_mul_f64 v[98:99], v[84:85], v[54:55]
	v_mul_f64 v[104:105], v[82:83], v[46:47]
	v_fma_f64 v[76:77], v[76:77], v[36:37], -v[100:101]
	v_mul_f64 v[100:101], v[80:81], v[46:47]
	v_fma_f64 v[78:79], v[78:79], v[36:37], v[102:103]
	v_mul_f64 v[102:103], v[90:91], v[58:59]
	v_fma_f64 v[96:97], v[84:85], v[52:53], -v[96:97]
	v_mul_f64 v[84:85], v[88:89], v[58:59]
	v_fma_f64 v[86:87], v[86:87], v[52:53], v[98:99]
	v_fma_f64 v[98:99], v[80:81], v[44:45], -v[104:105]
	v_add_f64 v[80:81], v[60:61], v[76:77]
	v_fma_f64 v[82:83], v[82:83], v[44:45], v[100:101]
	v_mul_f64 v[100:101], v[94:95], v[50:51]
	v_fma_f64 v[88:89], v[88:89], v[56:57], -v[102:103]
	v_mul_f64 v[102:103], v[92:93], v[50:51]
	v_fma_f64 v[90:91], v[90:91], v[56:57], v[84:85]
	v_add_f64 v[84:85], v[62:63], v[78:79]
	v_add_f64 v[104:105], v[64:65], v[60:61]
	v_fma_f64 v[80:81], v[80:81], -0.5, v[64:65]
	v_add_f64 v[106:107], v[62:63], -v[78:79]
	v_fma_f64 v[92:93], v[92:93], v[48:49], -v[100:101]
	v_add_f64 v[100:101], v[96:97], v[98:99]
	v_fma_f64 v[94:95], v[94:95], v[48:49], v[102:103]
	v_add_f64 v[62:63], v[66:67], v[62:63]
	v_fma_f64 v[84:85], v[84:85], -0.5, v[66:67]
	v_add_f64 v[102:103], v[60:61], -v[76:77]
	v_add_f64 v[108:109], v[86:87], -v[82:83]
	v_add_f64 v[60:61], v[104:105], v[76:77]
	v_fma_f64 v[64:65], v[106:107], s[6:7], v[80:81]
	v_fma_f64 v[100:101], v[100:101], -0.5, v[68:69]
	v_add_f64 v[104:105], v[68:69], v[96:97]
	v_fma_f64 v[76:77], v[106:107], s[8:9], v[80:81]
	v_add_f64 v[106:107], v[86:87], v[82:83]
	v_add_f64 v[62:63], v[62:63], v[78:79]
	v_fma_f64 v[66:67], v[102:103], s[8:9], v[84:85]
	v_fma_f64 v[78:79], v[102:103], s[6:7], v[84:85]
	v_add_f64 v[102:103], v[88:89], v[92:93]
	v_fma_f64 v[80:81], v[108:109], s[6:7], v[100:101]
	v_fma_f64 v[84:85], v[108:109], s[8:9], v[100:101]
	v_add_f64 v[100:101], v[90:91], v[94:95]
	v_add_f64 v[68:69], v[104:105], v[98:99]
	;; [unrolled: 1-line block ×3, first 2 shown]
	v_fma_f64 v[104:105], v[106:107], -0.5, v[70:71]
	v_add_f64 v[96:97], v[96:97], -v[98:99]
	v_add_f64 v[98:99], v[72:73], v[88:89]
	v_add_f64 v[106:107], v[90:91], -v[94:95]
	v_add_f64 v[90:91], v[74:75], v[90:91]
	v_fma_f64 v[102:103], v[102:103], -0.5, v[72:73]
	v_fma_f64 v[100:101], v[100:101], -0.5, v[74:75]
	v_add_f64 v[108:109], v[88:89], -v[92:93]
	v_add_f64 v[70:71], v[86:87], v[82:83]
	v_fma_f64 v[82:83], v[96:97], s[8:9], v[104:105]
	v_fma_f64 v[86:87], v[96:97], s[6:7], v[104:105]
	v_mul_u32_u24_e32 v96, 9, v110
	v_add_lshl_u32 v181, v96, v111, 4
	ds_write_b128 v181, v[60:63]
	ds_write_b128 v181, v[64:67] offset:48
	ds_write_b128 v181, v[76:79] offset:96
	v_mad_legacy_u16 v60, v112, 9, v113
	v_add_f64 v[72:73], v[98:99], v[92:93]
	v_add_f64 v[74:75], v[90:91], v[94:95]
	v_lshlrev_b32_e32 v182, 4, v60
	v_mad_legacy_u16 v60, v114, 9, v115
	v_fma_f64 v[88:89], v[106:107], s[6:7], v[102:103]
	v_fma_f64 v[90:91], v[108:109], s[8:9], v[100:101]
	v_lshlrev_b32_e32 v183, 4, v60
	v_mov_b32_e32 v60, 57
	v_fma_f64 v[92:93], v[106:107], s[8:9], v[102:103]
	v_fma_f64 v[94:95], v[108:109], s[6:7], v[100:101]
	v_mul_lo_u16_sdwa v60, v175, v60 dst_sel:DWORD dst_unused:UNUSED_PAD src0_sel:BYTE_0 src1_sel:DWORD
	v_lshrrev_b16_e32 v134, 9, v60
	v_mul_lo_u16_e32 v60, 9, v134
	v_sub_u16_e32 v60, v175, v60
	v_and_b32_e32 v135, 0xff, v60
	ds_write_b128 v182, v[68:71]
	ds_write_b128 v182, v[80:83] offset:48
	ds_write_b128 v182, v[84:87] offset:96
	v_lshlrev_b32_e32 v68, 5, v135
	ds_write_b128 v183, v[72:75]
	ds_write_b128 v183, v[88:91] offset:48
	ds_write_b128 v183, v[92:95] offset:96
	s_waitcnt lgkmcnt(0)
	s_barrier
	global_load_dwordx4 v[60:63], v68, s[10:11] offset:112
	global_load_dwordx4 v[64:67], v68, s[10:11] offset:96
	v_mul_u32_u24_sdwa v68, v156, s12 dst_sel:DWORD dst_unused:UNUSED_PAD src0_sel:WORD_0 src1_sel:DWORD
	v_lshrrev_b32_e32 v136, 19, v68
	v_mul_lo_u16_e32 v68, 9, v136
	v_sub_u16_e32 v137, v156, v68
	v_lshlrev_b16_e32 v68, 5, v137
	v_add_co_u32_e32 v72, vcc, s10, v68
	v_addc_co_u32_e32 v73, vcc, 0, v161, vcc
	global_load_dwordx4 v[68:71], v[72:73], off offset:112
	global_load_dwordx4 v[76:79], v[72:73], off offset:96
	v_mul_u32_u24_sdwa v72, v160, s12 dst_sel:DWORD dst_unused:UNUSED_PAD src0_sel:WORD_0 src1_sel:DWORD
	v_lshrrev_b32_e32 v138, 19, v72
	v_mul_lo_u16_e32 v72, 9, v138
	v_sub_u16_e32 v139, v160, v72
	v_lshlrev_b16_e32 v72, 5, v139
	v_add_co_u32_e32 v84, vcc, s10, v72
	v_addc_co_u32_e32 v85, vcc, 0, v161, vcc
	global_load_dwordx4 v[80:83], v[84:85], off offset:96
	global_load_dwordx4 v[72:75], v[84:85], off offset:112
	ds_read_b128 v[84:87], v173 offset:11664
	ds_read_b128 v[88:91], v173
	ds_read_b128 v[92:95], v173 offset:3888
	ds_read_b128 v[96:99], v173 offset:7776
	;; [unrolled: 1-line block ×7, first 2 shown]
	s_waitcnt vmcnt(0) lgkmcnt(0)
	s_barrier
	s_movk_i32 s12, 0x2f69
	v_mul_f64 v[124:125], v[102:103], v[62:63]
	v_mul_f64 v[120:121], v[86:87], v[66:67]
	;; [unrolled: 1-line block ×4, first 2 shown]
	v_fma_f64 v[100:101], v[100:101], v[60:61], -v[124:125]
	v_fma_f64 v[84:85], v[84:85], v[64:65], -v[120:121]
	v_fma_f64 v[86:87], v[86:87], v[64:65], v[122:123]
	v_mul_f64 v[120:121], v[110:111], v[78:79]
	v_mul_f64 v[122:123], v[108:109], v[78:79]
	;; [unrolled: 1-line block ×4, first 2 shown]
	v_fma_f64 v[102:103], v[102:103], v[60:61], v[126:127]
	v_fma_f64 v[120:121], v[108:109], v[76:77], -v[120:121]
	v_mul_f64 v[126:127], v[114:115], v[82:83]
	v_mul_f64 v[108:109], v[112:113], v[82:83]
	v_fma_f64 v[110:111], v[110:111], v[76:77], v[122:123]
	v_fma_f64 v[122:123], v[104:105], v[68:69], -v[128:129]
	v_fma_f64 v[106:107], v[106:107], v[68:69], v[124:125]
	v_mul_f64 v[124:125], v[118:119], v[74:75]
	v_add_f64 v[104:105], v[84:85], v[100:101]
	v_add_f64 v[128:129], v[88:89], v[84:85]
	v_fma_f64 v[112:113], v[112:113], v[80:81], -v[126:127]
	v_mul_f64 v[126:127], v[116:117], v[74:75]
	v_fma_f64 v[114:115], v[114:115], v[80:81], v[108:109]
	v_add_f64 v[108:109], v[86:87], v[102:103]
	v_add_f64 v[130:131], v[86:87], -v[102:103]
	v_fma_f64 v[116:117], v[116:117], v[72:73], -v[124:125]
	v_add_f64 v[124:125], v[120:121], v[122:123]
	v_fma_f64 v[104:105], v[104:105], -0.5, v[88:89]
	v_add_f64 v[86:87], v[90:91], v[86:87]
	v_fma_f64 v[118:119], v[118:119], v[72:73], v[126:127]
	v_add_f64 v[126:127], v[84:85], -v[100:101]
	v_fma_f64 v[108:109], v[108:109], -0.5, v[90:91]
	v_add_f64 v[132:133], v[110:111], -v[106:107]
	v_add_f64 v[84:85], v[128:129], v[100:101]
	v_fma_f64 v[124:125], v[124:125], -0.5, v[92:93]
	v_fma_f64 v[88:89], v[130:131], s[6:7], v[104:105]
	v_add_f64 v[128:129], v[92:93], v[120:121]
	v_fma_f64 v[100:101], v[130:131], s[8:9], v[104:105]
	v_add_f64 v[130:131], v[110:111], v[106:107]
	v_add_f64 v[86:87], v[86:87], v[102:103]
	v_fma_f64 v[90:91], v[126:127], s[8:9], v[108:109]
	v_fma_f64 v[102:103], v[126:127], s[6:7], v[108:109]
	v_add_f64 v[126:127], v[112:113], v[116:117]
	v_fma_f64 v[104:105], v[132:133], s[6:7], v[124:125]
	v_fma_f64 v[108:109], v[132:133], s[8:9], v[124:125]
	v_add_f64 v[124:125], v[114:115], v[118:119]
	v_add_f64 v[110:111], v[94:95], v[110:111]
	;; [unrolled: 1-line block ×3, first 2 shown]
	v_fma_f64 v[128:129], v[130:131], -0.5, v[94:95]
	v_add_f64 v[120:121], v[120:121], -v[122:123]
	v_add_f64 v[122:123], v[96:97], v[112:113]
	v_add_f64 v[130:131], v[114:115], -v[118:119]
	v_add_f64 v[114:115], v[98:99], v[114:115]
	v_fma_f64 v[126:127], v[126:127], -0.5, v[96:97]
	v_fma_f64 v[124:125], v[124:125], -0.5, v[98:99]
	v_add_f64 v[132:133], v[112:113], -v[116:117]
	v_add_f64 v[94:95], v[110:111], v[106:107]
	v_fma_f64 v[106:107], v[120:121], s[8:9], v[128:129]
	v_fma_f64 v[110:111], v[120:121], s[6:7], v[128:129]
	v_mul_u32_u24_e32 v120, 27, v134
	v_add_lshl_u32 v184, v120, v135, 4
	ds_write_b128 v184, v[84:87]
	ds_write_b128 v184, v[88:91] offset:144
	ds_write_b128 v184, v[100:103] offset:288
	v_mad_legacy_u16 v84, v136, 27, v137
	v_add_f64 v[96:97], v[122:123], v[116:117]
	v_add_f64 v[98:99], v[114:115], v[118:119]
	v_lshlrev_b32_e32 v185, 4, v84
	v_mad_legacy_u16 v84, v138, 27, v139
	v_fma_f64 v[112:113], v[130:131], s[6:7], v[126:127]
	v_fma_f64 v[114:115], v[132:133], s[8:9], v[124:125]
	v_lshlrev_b32_e32 v186, 4, v84
	v_mov_b32_e32 v84, 19
	v_fma_f64 v[116:117], v[130:131], s[8:9], v[126:127]
	v_fma_f64 v[118:119], v[132:133], s[6:7], v[124:125]
	v_mul_lo_u16_sdwa v84, v175, v84 dst_sel:DWORD dst_unused:UNUSED_PAD src0_sel:BYTE_0 src1_sel:DWORD
	v_lshrrev_b16_e32 v159, 9, v84
	ds_write_b128 v185, v[92:95]
	ds_write_b128 v185, v[104:107] offset:144
	ds_write_b128 v185, v[108:111] offset:288
	v_mul_lo_u16_e32 v84, 27, v159
	v_mul_u32_u24_sdwa v92, v156, s12 dst_sel:DWORD dst_unused:UNUSED_PAD src0_sel:WORD_0 src1_sel:DWORD
	v_sub_u16_e32 v84, v175, v84
	v_sub_u16_sdwa v93, v156, v92 dst_sel:DWORD dst_unused:UNUSED_PAD src0_sel:DWORD src1_sel:WORD_1
	v_and_b32_e32 v162, 0xff, v84
	v_lshrrev_b16_e32 v93, 1, v93
	v_lshlrev_b32_e32 v88, 5, v162
	v_add_u16_sdwa v92, v93, v92 dst_sel:DWORD dst_unused:UNUSED_PAD src0_sel:DWORD src1_sel:WORD_1
	ds_write_b128 v186, v[96:99]
	ds_write_b128 v186, v[112:115] offset:144
	ds_write_b128 v186, v[116:119] offset:288
	s_waitcnt lgkmcnt(0)
	s_barrier
	global_load_dwordx4 v[84:87], v88, s[10:11] offset:400
	s_nop 0
	global_load_dwordx4 v[88:91], v88, s[10:11] offset:384
	v_lshrrev_b16_e32 v163, 4, v92
	v_mul_lo_u16_e32 v92, 27, v163
	v_sub_u16_e32 v164, v156, v92
	v_lshlrev_b16_e32 v92, 5, v164
	v_add_co_u32_e32 v96, vcc, s10, v92
	v_addc_co_u32_e32 v97, vcc, 0, v161, vcc
	global_load_dwordx4 v[92:95], v[96:97], off offset:400
	global_load_dwordx4 v[100:103], v[96:97], off offset:384
	v_mul_u32_u24_sdwa v96, v160, s12 dst_sel:DWORD dst_unused:UNUSED_PAD src0_sel:WORD_0 src1_sel:DWORD
	v_sub_u16_sdwa v97, v160, v96 dst_sel:DWORD dst_unused:UNUSED_PAD src0_sel:DWORD src1_sel:WORD_1
	v_lshrrev_b16_e32 v97, 1, v97
	v_add_u16_sdwa v96, v97, v96 dst_sel:DWORD dst_unused:UNUSED_PAD src0_sel:DWORD src1_sel:WORD_1
	v_lshrrev_b16_e32 v165, 4, v96
	v_mul_lo_u16_e32 v96, 27, v165
	v_sub_u16_e32 v166, v160, v96
	v_lshlrev_b16_e32 v96, 5, v166
	v_add_co_u32_e32 v96, vcc, s10, v96
	v_addc_co_u32_e32 v97, vcc, 0, v161, vcc
	global_load_dwordx4 v[104:107], v[96:97], off offset:384
	s_nop 0
	global_load_dwordx4 v[96:99], v[96:97], off offset:400
	ds_read_b128 v[108:111], v173 offset:11664
	ds_read_b128 v[112:115], v173
	ds_read_b128 v[116:119], v173 offset:3888
	ds_read_b128 v[120:123], v173 offset:7776
	;; [unrolled: 1-line block ×7, first 2 shown]
	s_movk_i32 s12, 0x51
	s_waitcnt vmcnt(0) lgkmcnt(0)
	s_barrier
	v_mul_f64 v[148:149], v[126:127], v[86:87]
	v_mul_f64 v[144:145], v[110:111], v[90:91]
	;; [unrolled: 1-line block ×4, first 2 shown]
	v_fma_f64 v[124:125], v[124:125], v[84:85], -v[148:149]
	v_fma_f64 v[108:109], v[108:109], v[88:89], -v[144:145]
	v_mul_f64 v[144:145], v[134:135], v[102:103]
	v_fma_f64 v[110:111], v[110:111], v[88:89], v[146:147]
	v_mul_f64 v[146:147], v[132:133], v[102:103]
	v_mul_f64 v[152:153], v[130:131], v[94:95]
	;; [unrolled: 1-line block ×3, first 2 shown]
	v_fma_f64 v[126:127], v[126:127], v[84:85], v[150:151]
	v_fma_f64 v[144:145], v[132:133], v[100:101], -v[144:145]
	v_fma_f64 v[134:135], v[134:135], v[100:101], v[146:147]
	v_fma_f64 v[146:147], v[128:129], v[92:93], -v[152:153]
	v_mul_f64 v[150:151], v[138:139], v[106:107]
	v_mul_f64 v[132:133], v[136:137], v[106:107]
	v_fma_f64 v[130:131], v[130:131], v[92:93], v[148:149]
	v_mul_f64 v[148:149], v[142:143], v[98:99]
	v_add_f64 v[128:129], v[108:109], v[124:125]
	v_add_f64 v[152:153], v[112:113], v[108:109]
	v_add_f64 v[154:155], v[110:111], -v[126:127]
	v_fma_f64 v[136:137], v[136:137], v[104:105], -v[150:151]
	v_mul_f64 v[150:151], v[140:141], v[98:99]
	v_fma_f64 v[138:139], v[138:139], v[104:105], v[132:133]
	v_add_f64 v[132:133], v[110:111], v[126:127]
	v_fma_f64 v[140:141], v[140:141], v[96:97], -v[148:149]
	v_add_f64 v[148:149], v[144:145], v[146:147]
	v_fma_f64 v[128:129], v[128:129], -0.5, v[112:113]
	v_add_f64 v[110:111], v[114:115], v[110:111]
	v_add_f64 v[157:158], v[134:135], -v[130:131]
	v_fma_f64 v[142:143], v[142:143], v[96:97], v[150:151]
	v_add_f64 v[150:151], v[108:109], -v[124:125]
	v_fma_f64 v[132:133], v[132:133], -0.5, v[114:115]
	v_add_f64 v[108:109], v[152:153], v[124:125]
	v_fma_f64 v[148:149], v[148:149], -0.5, v[116:117]
	v_fma_f64 v[112:113], v[154:155], s[6:7], v[128:129]
	v_add_f64 v[152:153], v[116:117], v[144:145]
	v_fma_f64 v[124:125], v[154:155], s[8:9], v[128:129]
	v_add_f64 v[154:155], v[134:135], v[130:131]
	v_add_f64 v[110:111], v[110:111], v[126:127]
	v_fma_f64 v[114:115], v[150:151], s[8:9], v[132:133]
	v_fma_f64 v[126:127], v[150:151], s[6:7], v[132:133]
	v_add_f64 v[150:151], v[136:137], v[140:141]
	v_fma_f64 v[128:129], v[157:158], s[6:7], v[148:149]
	v_fma_f64 v[132:133], v[157:158], s[8:9], v[148:149]
	v_add_f64 v[148:149], v[138:139], v[142:143]
	v_add_f64 v[116:117], v[152:153], v[146:147]
	;; [unrolled: 1-line block ×3, first 2 shown]
	v_fma_f64 v[152:153], v[154:155], -0.5, v[118:119]
	v_add_f64 v[144:145], v[144:145], -v[146:147]
	v_add_f64 v[146:147], v[120:121], v[136:137]
	v_add_f64 v[154:155], v[138:139], -v[142:143]
	v_add_f64 v[138:139], v[122:123], v[138:139]
	v_fma_f64 v[150:151], v[150:151], -0.5, v[120:121]
	v_fma_f64 v[148:149], v[148:149], -0.5, v[122:123]
	v_add_f64 v[157:158], v[136:137], -v[140:141]
	v_add_f64 v[118:119], v[134:135], v[130:131]
	v_fma_f64 v[130:131], v[144:145], s[8:9], v[152:153]
	v_fma_f64 v[134:135], v[144:145], s[6:7], v[152:153]
	v_mul_u32_u24_e32 v144, 0x51, v159
	v_add_lshl_u32 v187, v144, v162, 4
	v_add_f64 v[120:121], v[146:147], v[140:141]
	v_add_f64 v[122:123], v[138:139], v[142:143]
	ds_write_b128 v187, v[108:111]
	ds_write_b128 v187, v[112:115] offset:432
	ds_write_b128 v187, v[124:127] offset:864
	v_mad_legacy_u16 v108, v163, s12, v164
	v_fma_f64 v[136:137], v[154:155], s[6:7], v[150:151]
	v_fma_f64 v[138:139], v[157:158], s[8:9], v[148:149]
	v_lshlrev_b32_e32 v188, 4, v108
	v_mad_legacy_u16 v108, v165, s12, v166
	s_movk_i32 s12, 0xcb
	v_fma_f64 v[140:141], v[154:155], s[8:9], v[150:151]
	v_fma_f64 v[142:143], v[157:158], s[6:7], v[148:149]
	v_lshlrev_b32_e32 v189, 4, v108
	v_mul_lo_u16_sdwa v108, v175, s12 dst_sel:DWORD dst_unused:UNUSED_PAD src0_sel:BYTE_0 src1_sel:DWORD
	v_lshrrev_b16_e32 v159, 14, v108
	v_mul_lo_u16_e32 v108, 0x51, v159
	v_sub_u16_e32 v108, v175, v108
	v_and_b32_e32 v206, 0xff, v108
	v_lshlrev_b32_e32 v112, 5, v206
	ds_write_b128 v188, v[116:119]
	ds_write_b128 v188, v[128:131] offset:432
	ds_write_b128 v188, v[132:135] offset:864
	ds_write_b128 v189, v[120:123]
	ds_write_b128 v189, v[136:139] offset:432
	ds_write_b128 v189, v[140:143] offset:864
	s_waitcnt lgkmcnt(0)
	s_barrier
	global_load_dwordx4 v[108:111], v112, s[10:11] offset:1264
	s_nop 0
	global_load_dwordx4 v[112:115], v112, s[10:11] offset:1248
	s_movk_i32 s12, 0x6523
	v_mul_u32_u24_sdwa v116, v156, s12 dst_sel:DWORD dst_unused:UNUSED_PAD src0_sel:WORD_0 src1_sel:DWORD
	v_lshrrev_b32_e32 v207, 21, v116
	v_mul_lo_u16_e32 v116, 0x51, v207
	v_sub_u16_e32 v208, v156, v116
	v_lshlrev_b16_e32 v116, 5, v208
	v_add_co_u32_e32 v120, vcc, s10, v116
	v_addc_co_u32_e32 v121, vcc, 0, v161, vcc
	global_load_dwordx4 v[116:119], v[120:121], off offset:1264
	global_load_dwordx4 v[124:127], v[120:121], off offset:1248
	v_mul_u32_u24_sdwa v120, v160, s12 dst_sel:DWORD dst_unused:UNUSED_PAD src0_sel:WORD_0 src1_sel:DWORD
	v_lshrrev_b32_e32 v209, 21, v120
	v_mul_lo_u16_e32 v120, 0x51, v209
	v_sub_u16_e32 v210, v160, v120
	v_lshlrev_b16_e32 v120, 5, v210
	v_add_co_u32_e32 v120, vcc, s10, v120
	v_addc_co_u32_e32 v121, vcc, 0, v161, vcc
	global_load_dwordx4 v[128:131], v[120:121], off offset:1248
	s_nop 0
	global_load_dwordx4 v[120:123], v[120:121], off offset:1264
	ds_read_b128 v[132:135], v173 offset:11664
	ds_read_b128 v[136:139], v173
	ds_read_b128 v[140:143], v173 offset:3888
	ds_read_b128 v[144:147], v173 offset:7776
	;; [unrolled: 1-line block ×7, first 2 shown]
	s_waitcnt vmcnt(0) lgkmcnt(0)
	s_barrier
	v_lshlrev_b32_e32 v156, 5, v156
	v_mul_f64 v[194:195], v[150:151], v[110:111]
	v_mul_f64 v[157:158], v[134:135], v[114:115]
	;; [unrolled: 1-line block ×4, first 2 shown]
	v_fma_f64 v[148:149], v[148:149], v[108:109], -v[194:195]
	v_fma_f64 v[132:133], v[132:133], v[112:113], -v[157:158]
	v_fma_f64 v[134:135], v[134:135], v[112:113], v[170:171]
	v_mul_f64 v[198:199], v[154:155], v[118:119]
	v_mul_f64 v[157:158], v[164:165], v[126:127]
	;; [unrolled: 1-line block ×4, first 2 shown]
	v_fma_f64 v[150:151], v[150:151], v[108:109], v[196:197]
	v_fma_f64 v[157:158], v[162:163], v[124:125], -v[157:158]
	v_mul_f64 v[196:197], v[168:169], v[130:131]
	v_mul_f64 v[162:163], v[166:167], v[130:131]
	v_fma_f64 v[164:165], v[164:165], v[124:125], v[170:171]
	v_fma_f64 v[170:171], v[152:153], v[116:117], -v[198:199]
	v_fma_f64 v[154:155], v[154:155], v[116:117], v[194:195]
	v_mul_f64 v[194:195], v[192:193], v[122:123]
	v_add_f64 v[152:153], v[132:133], v[148:149]
	v_add_f64 v[198:199], v[136:137], v[132:133]
	v_fma_f64 v[166:167], v[166:167], v[128:129], -v[196:197]
	v_mul_f64 v[196:197], v[190:191], v[122:123]
	v_fma_f64 v[168:169], v[168:169], v[128:129], v[162:163]
	v_add_f64 v[162:163], v[134:135], v[150:151]
	v_add_f64 v[200:201], v[134:135], -v[150:151]
	v_fma_f64 v[190:191], v[190:191], v[120:121], -v[194:195]
	v_add_f64 v[194:195], v[157:158], v[170:171]
	v_fma_f64 v[152:153], v[152:153], -0.5, v[136:137]
	v_add_f64 v[134:135], v[138:139], v[134:135]
	v_fma_f64 v[196:197], v[192:193], v[120:121], v[196:197]
	v_add_f64 v[192:193], v[132:133], -v[148:149]
	v_fma_f64 v[162:163], v[162:163], -0.5, v[138:139]
	v_add_f64 v[202:203], v[164:165], -v[154:155]
	v_add_f64 v[132:133], v[198:199], v[148:149]
	v_fma_f64 v[194:195], v[194:195], -0.5, v[140:141]
	v_fma_f64 v[136:137], v[200:201], s[6:7], v[152:153]
	v_add_f64 v[198:199], v[140:141], v[157:158]
	v_fma_f64 v[148:149], v[200:201], s[8:9], v[152:153]
	v_add_f64 v[200:201], v[164:165], v[154:155]
	v_add_f64 v[134:135], v[134:135], v[150:151]
	v_fma_f64 v[138:139], v[192:193], s[8:9], v[162:163]
	v_fma_f64 v[150:151], v[192:193], s[6:7], v[162:163]
	v_add_f64 v[192:193], v[166:167], v[190:191]
	v_fma_f64 v[152:153], v[202:203], s[6:7], v[194:195]
	v_fma_f64 v[162:163], v[202:203], s[8:9], v[194:195]
	v_add_f64 v[194:195], v[168:169], v[196:197]
	v_add_f64 v[140:141], v[198:199], v[170:171]
	;; [unrolled: 1-line block ×3, first 2 shown]
	v_fma_f64 v[198:199], v[200:201], -0.5, v[142:143]
	v_add_f64 v[157:158], v[157:158], -v[170:171]
	v_add_f64 v[170:171], v[144:145], v[166:167]
	v_add_f64 v[200:201], v[168:169], -v[196:197]
	v_add_f64 v[168:169], v[146:147], v[168:169]
	v_fma_f64 v[192:193], v[192:193], -0.5, v[144:145]
	v_fma_f64 v[202:203], v[194:195], -0.5, v[146:147]
	v_add_f64 v[204:205], v[166:167], -v[190:191]
	v_add_f64 v[142:143], v[164:165], v[154:155]
	v_fma_f64 v[154:155], v[157:158], s[8:9], v[198:199]
	v_add_f64 v[144:145], v[170:171], v[190:191]
	v_fma_f64 v[164:165], v[157:158], s[6:7], v[198:199]
	;; [unrolled: 2-line block ×3, first 2 shown]
	v_fma_f64 v[193:194], v[200:201], s[8:9], v[192:193]
	v_fma_f64 v[168:169], v[204:205], s[8:9], v[202:203]
	;; [unrolled: 1-line block ×3, first 2 shown]
	v_mul_u32_u24_e32 v157, 0xf3, v159
	v_add_lshl_u32 v190, v157, v206, 4
	ds_write_b128 v190, v[132:135]
	ds_write_b128 v190, v[136:139] offset:1296
	ds_write_b128 v190, v[148:151] offset:2592
	v_mad_legacy_u16 v132, v207, s16, v208
	v_lshlrev_b32_e32 v191, 4, v132
	v_mad_legacy_u16 v132, v209, s16, v210
	v_lshlrev_b32_e32 v192, 4, v132
	v_lshlrev_b32_e32 v159, 5, v175
	ds_write_b128 v191, v[140:143]
	ds_write_b128 v191, v[152:155] offset:1296
	ds_write_b128 v191, v[162:165] offset:2592
	ds_write_b128 v192, v[144:147]
	ds_write_b128 v192, v[166:169] offset:1296
	ds_write_b128 v192, v[193:196] offset:2592
	s_waitcnt lgkmcnt(0)
	s_barrier
	global_load_dwordx4 v[136:139], v159, s[10:11] offset:3840
	global_load_dwordx4 v[132:135], v159, s[10:11] offset:3856
	s_movk_i32 s11, 0xdb3
	v_mul_u32_u24_sdwa v140, v160, s11 dst_sel:DWORD dst_unused:UNUSED_PAD src0_sel:WORD_0 src1_sel:DWORD
	v_sub_u16_sdwa v141, v160, v140 dst_sel:DWORD dst_unused:UNUSED_PAD src0_sel:DWORD src1_sel:WORD_1
	v_lshrrev_b16_e32 v141, 1, v141
	v_add_u16_sdwa v140, v141, v140 dst_sel:DWORD dst_unused:UNUSED_PAD src0_sel:DWORD src1_sel:WORD_1
	v_lshrrev_b16_e32 v140, 7, v140
	v_mul_lo_u16_e32 v140, 0xf3, v140
	v_sub_u16_e32 v223, v160, v140
	v_lshlrev_b16_e32 v140, 5, v223
	v_add_co_u32_e32 v140, vcc, s10, v140
	v_addc_co_u32_e32 v141, vcc, 0, v161, vcc
	global_load_dwordx4 v[144:147], v[140:141], off offset:3840
	s_nop 0
	global_load_dwordx4 v[140:143], v[140:141], off offset:3856
	ds_read_b128 v[148:151], v173
	ds_read_b128 v[152:155], v173 offset:3888
	ds_read_b128 v[162:165], v173 offset:23328
	;; [unrolled: 1-line block ×8, first 2 shown]
	v_add_co_u32_e32 v159, vcc, s10, v159
	v_addc_co_u32_e32 v224, vcc, 0, v161, vcc
	s_movk_i32 s11, 0x2d60
	s_waitcnt vmcnt(0) lgkmcnt(0)
	s_barrier
	v_lshlrev_b32_e32 v160, 5, v160
	v_mul_f64 v[157:158], v[195:196], v[138:139]
	v_mul_f64 v[170:171], v[193:194], v[138:139]
	;; [unrolled: 1-line block ×5, first 2 shown]
	v_fma_f64 v[157:158], v[193:194], v[136:137], -v[157:158]
	v_mul_f64 v[193:194], v[203:204], v[138:139]
	v_fma_f64 v[170:171], v[195:196], v[136:137], v[170:171]
	v_mul_f64 v[195:196], v[201:202], v[138:139]
	v_fma_f64 v[162:163], v[162:163], v[132:133], -v[213:214]
	v_mul_f64 v[213:214], v[166:167], v[134:135]
	v_fma_f64 v[164:165], v[164:165], v[132:133], v[215:216]
	v_mul_f64 v[215:216], v[207:208], v[146:147]
	v_fma_f64 v[219:220], v[201:202], v[136:137], -v[193:194]
	v_mul_f64 v[193:194], v[205:206], v[146:147]
	v_fma_f64 v[195:196], v[203:204], v[136:137], v[195:196]
	v_fma_f64 v[203:204], v[166:167], v[132:133], -v[217:218]
	v_fma_f64 v[213:214], v[168:169], v[132:133], v[213:214]
	v_mul_f64 v[168:169], v[211:212], v[142:143]
	v_add_f64 v[166:167], v[157:158], v[162:163]
	v_fma_f64 v[205:206], v[205:206], v[144:145], -v[215:216]
	v_mul_f64 v[201:202], v[209:210], v[142:143]
	v_fma_f64 v[207:208], v[207:208], v[144:145], v[193:194]
	v_add_f64 v[193:194], v[170:171], v[164:165]
	v_add_f64 v[215:216], v[148:149], v[157:158]
	v_add_f64 v[217:218], v[170:171], -v[164:165]
	v_fma_f64 v[209:210], v[209:210], v[140:141], -v[168:169]
	v_add_f64 v[168:169], v[219:220], v[203:204]
	v_add_f64 v[170:171], v[150:151], v[170:171]
	v_fma_f64 v[166:167], v[166:167], -0.5, v[148:149]
	v_fma_f64 v[211:212], v[211:212], v[140:141], v[201:202]
	v_fma_f64 v[193:194], v[193:194], -0.5, v[150:151]
	v_add_f64 v[157:158], v[157:158], -v[162:163]
	v_add_f64 v[148:149], v[215:216], v[162:163]
	v_add_f64 v[201:202], v[152:153], v[219:220]
	v_fma_f64 v[215:216], v[168:169], -0.5, v[152:153]
	v_add_f64 v[221:222], v[195:196], -v[213:214]
	v_add_f64 v[150:151], v[170:171], v[164:165]
	v_add_f64 v[170:171], v[195:196], v[213:214]
	;; [unrolled: 1-line block ×3, first 2 shown]
	v_fma_f64 v[164:165], v[157:158], s[8:9], v[193:194]
	v_fma_f64 v[168:169], v[157:158], s[6:7], v[193:194]
	v_add_f64 v[152:153], v[201:202], v[203:204]
	v_add_f64 v[157:158], v[205:206], v[209:210]
	v_fma_f64 v[193:194], v[221:222], s[6:7], v[215:216]
	v_fma_f64 v[201:202], v[221:222], s[8:9], v[215:216]
	v_add_f64 v[215:216], v[207:208], v[211:212]
	v_fma_f64 v[162:163], v[217:218], s[6:7], v[166:167]
	v_fma_f64 v[166:167], v[217:218], s[8:9], v[166:167]
	v_fma_f64 v[170:171], v[170:171], -0.5, v[154:155]
	v_add_f64 v[203:204], v[219:220], -v[203:204]
	v_add_f64 v[217:218], v[197:198], v[205:206]
	v_add_f64 v[219:220], v[207:208], -v[211:212]
	v_add_f64 v[207:208], v[199:200], v[207:208]
	v_fma_f64 v[157:158], v[157:158], -0.5, v[197:198]
	v_fma_f64 v[215:216], v[215:216], -0.5, v[199:200]
	v_add_f64 v[221:222], v[205:206], -v[209:210]
	v_add_f64 v[154:155], v[195:196], v[213:214]
	v_fma_f64 v[195:196], v[203:204], s[8:9], v[170:171]
	v_add_f64 v[197:198], v[217:218], v[209:210]
	v_fma_f64 v[203:204], v[203:204], s[6:7], v[170:171]
	;; [unrolled: 2-line block ×3, first 2 shown]
	v_fma_f64 v[209:210], v[219:220], s[8:9], v[157:158]
	v_fma_f64 v[207:208], v[221:222], s[8:9], v[215:216]
	v_fma_f64 v[211:212], v[221:222], s[6:7], v[215:216]
	ds_write_b128 v173, v[148:151]
	ds_write_b128 v173, v[162:165] offset:3888
	ds_write_b128 v173, v[166:169] offset:7776
	;; [unrolled: 1-line block ×5, first 2 shown]
	v_add_co_u32_e32 v148, vcc, s11, v159
	v_addc_co_u32_e32 v149, vcc, 0, v224, vcc
	v_add_co_u32_e32 v150, vcc, s14, v159
	v_lshlrev_b32_e32 v193, 4, v223
	v_addc_co_u32_e32 v151, vcc, 0, v224, vcc
	ds_write_b128 v193, v[197:200] offset:23328
	ds_write_b128 v193, v[205:208] offset:27216
	;; [unrolled: 1-line block ×3, first 2 shown]
	s_waitcnt lgkmcnt(0)
	s_barrier
	global_load_dwordx4 v[152:155], v[150:151], off offset:3424
	s_nop 0
	global_load_dwordx4 v[148:151], v[148:149], off offset:16
	v_add_co_u32_e32 v158, vcc, s10, v156
	v_addc_co_u32_e32 v159, vcc, 0, v161, vcc
	v_add_co_u32_e32 v156, vcc, s11, v158
	v_addc_co_u32_e32 v157, vcc, 0, v159, vcc
	;; [unrolled: 2-line block ×3, first 2 shown]
	global_load_dwordx4 v[164:167], v[158:159], off offset:3424
	s_nop 0
	global_load_dwordx4 v[156:159], v[156:157], off offset:16
	v_add_co_u32_e32 v162, vcc, s10, v160
	v_addc_co_u32_e32 v163, vcc, 0, v161, vcc
	v_add_co_u32_e32 v160, vcc, s14, v162
	v_addc_co_u32_e32 v161, vcc, 0, v163, vcc
	global_load_dwordx4 v[168:171], v[160:161], off offset:3424
	v_add_co_u32_e32 v160, vcc, s11, v162
	v_addc_co_u32_e32 v161, vcc, 0, v163, vcc
	global_load_dwordx4 v[160:163], v[160:161], off offset:16
	ds_read_b128 v[194:197], v173 offset:11664
	ds_read_b128 v[198:201], v173
	ds_read_b128 v[202:205], v173 offset:3888
	ds_read_b128 v[206:209], v173 offset:7776
	ds_read_b128 v[210:213], v173 offset:23328
	ds_read_b128 v[214:217], v173 offset:27216
	ds_read_b128 v[218:221], v173 offset:15552
	ds_read_b128 v[222:225], v173 offset:19440
	ds_read_b128 v[226:229], v173 offset:31104
	s_mov_b32 s10, 0x8000
	s_waitcnt vmcnt(5) lgkmcnt(8)
	v_mul_f64 v[230:231], v[196:197], v[154:155]
	v_mul_f64 v[232:233], v[194:195], v[154:155]
	s_waitcnt vmcnt(4) lgkmcnt(4)
	v_mul_f64 v[234:235], v[212:213], v[150:151]
	v_mul_f64 v[236:237], v[210:211], v[150:151]
	v_fma_f64 v[194:195], v[194:195], v[152:153], -v[230:231]
	v_fma_f64 v[196:197], v[196:197], v[152:153], v[232:233]
	v_fma_f64 v[210:211], v[210:211], v[148:149], -v[234:235]
	v_fma_f64 v[212:213], v[212:213], v[148:149], v[236:237]
	s_waitcnt vmcnt(3) lgkmcnt(2)
	v_mul_f64 v[230:231], v[220:221], v[166:167]
	v_mul_f64 v[232:233], v[218:219], v[166:167]
	s_waitcnt vmcnt(2)
	v_mul_f64 v[238:239], v[216:217], v[158:159]
	v_mul_f64 v[234:235], v[214:215], v[158:159]
	v_add_f64 v[240:241], v[196:197], -v[212:213]
	v_fma_f64 v[218:219], v[218:219], v[164:165], -v[230:231]
	v_fma_f64 v[220:221], v[220:221], v[164:165], v[232:233]
	s_waitcnt vmcnt(1) lgkmcnt(1)
	v_mul_f64 v[236:237], v[224:225], v[170:171]
	v_mul_f64 v[230:231], v[222:223], v[170:171]
	v_fma_f64 v[214:215], v[214:215], v[156:157], -v[238:239]
	v_add_f64 v[232:233], v[194:195], v[210:211]
	v_fma_f64 v[216:217], v[216:217], v[156:157], v[234:235]
	s_waitcnt vmcnt(0) lgkmcnt(0)
	v_mul_f64 v[234:235], v[228:229], v[162:163]
	v_add_f64 v[238:239], v[198:199], v[194:195]
	v_fma_f64 v[222:223], v[222:223], v[168:169], -v[236:237]
	v_mul_f64 v[236:237], v[226:227], v[162:163]
	v_fma_f64 v[224:225], v[224:225], v[168:169], v[230:231]
	v_add_f64 v[230:231], v[196:197], v[212:213]
	v_fma_f64 v[232:233], v[232:233], -0.5, v[198:199]
	v_fma_f64 v[226:227], v[226:227], v[160:161], -v[234:235]
	v_add_f64 v[234:235], v[218:219], v[214:215]
	v_add_f64 v[196:197], v[200:201], v[196:197]
	;; [unrolled: 1-line block ×3, first 2 shown]
	v_fma_f64 v[228:229], v[228:229], v[160:161], v[236:237]
	v_add_f64 v[236:237], v[194:195], -v[210:211]
	v_fma_f64 v[230:231], v[230:231], -0.5, v[200:201]
	v_add_f64 v[194:195], v[238:239], v[210:211]
	v_add_f64 v[238:239], v[202:203], v[218:219]
	v_fma_f64 v[198:199], v[240:241], s[6:7], v[232:233]
	v_fma_f64 v[234:235], v[234:235], -0.5, v[202:203]
	v_add_f64 v[242:243], v[220:221], -v[216:217]
	v_add_f64 v[196:197], v[196:197], v[212:213]
	v_fma_f64 v[210:211], v[240:241], s[8:9], v[232:233]
	v_fma_f64 v[200:201], v[236:237], s[8:9], v[230:231]
	v_add_f64 v[232:233], v[222:223], v[226:227]
	v_fma_f64 v[212:213], v[236:237], s[6:7], v[230:231]
	v_add_f64 v[230:231], v[224:225], v[228:229]
	v_add_f64 v[220:221], v[204:205], v[220:221]
	v_fma_f64 v[236:237], v[244:245], -0.5, v[204:205]
	v_add_f64 v[218:219], v[218:219], -v[214:215]
	v_add_f64 v[202:203], v[238:239], v[214:215]
	v_add_f64 v[238:239], v[206:207], v[222:223]
	v_add_f64 v[240:241], v[224:225], -v[228:229]
	v_add_f64 v[224:225], v[208:209], v[224:225]
	v_fma_f64 v[232:233], v[232:233], -0.5, v[206:207]
	v_fma_f64 v[230:231], v[230:231], -0.5, v[208:209]
	v_fma_f64 v[206:207], v[242:243], s[6:7], v[234:235]
	v_fma_f64 v[214:215], v[242:243], s[8:9], v[234:235]
	v_add_f64 v[234:235], v[222:223], -v[226:227]
	v_add_f64 v[204:205], v[220:221], v[216:217]
	v_fma_f64 v[208:209], v[218:219], s[8:9], v[236:237]
	v_fma_f64 v[216:217], v[218:219], s[6:7], v[236:237]
	v_add_f64 v[218:219], v[238:239], v[226:227]
	v_add_f64 v[220:221], v[224:225], v[228:229]
	v_fma_f64 v[222:223], v[240:241], s[6:7], v[232:233]
	v_fma_f64 v[226:227], v[240:241], s[8:9], v[232:233]
	;; [unrolled: 1-line block ×4, first 2 shown]
	ds_write_b128 v173, v[194:197]
	ds_write_b128 v173, v[198:201] offset:11664
	ds_write_b128 v173, v[210:213] offset:23328
	;; [unrolled: 1-line block ×8, first 2 shown]
	v_add_co_u32_e32 v194, vcc, s10, v176
	v_addc_co_u32_e32 v195, vcc, 0, v177, vcc
	s_waitcnt lgkmcnt(0)
	s_barrier
	global_load_dwordx4 v[194:197], v[194:195], off offset:2224
	s_mov_b32 s10, 0xb000
	v_add_co_u32_e32 v198, vcc, s10, v176
	v_addc_co_u32_e32 v199, vcc, 0, v177, vcc
	global_load_dwordx4 v[198:201], v[198:199], off offset:1600
	s_mov_b32 s10, 0xe000
	v_add_co_u32_e32 v202, vcc, s10, v176
	v_addc_co_u32_e32 v203, vcc, 0, v177, vcc
	;; [unrolled: 4-line block ×7, first 2 shown]
	s_mov_b32 s10, 0x10000
	v_add_co_u32_e32 v176, vcc, s10, v176
	global_load_dwordx4 v[222:225], v[222:223], off offset:1184
	v_addc_co_u32_e32 v177, vcc, 0, v177, vcc
	global_load_dwordx4 v[226:229], v[176:177], off offset:560
	ds_read_b128 v[230:233], v173
	ds_read_b128 v[234:237], v173 offset:11664
	s_waitcnt vmcnt(8) lgkmcnt(1)
	v_mul_f64 v[176:177], v[232:233], v[196:197]
	v_mul_f64 v[196:197], v[230:231], v[196:197]
	v_fma_f64 v[230:231], v[230:231], v[194:195], -v[176:177]
	s_waitcnt vmcnt(7) lgkmcnt(0)
	v_mul_f64 v[176:177], v[236:237], v[200:201]
	v_fma_f64 v[232:233], v[232:233], v[194:195], v[196:197]
	v_mul_f64 v[200:201], v[234:235], v[200:201]
	ds_read_b128 v[194:197], v173 offset:23328
	v_fma_f64 v[234:235], v[234:235], v[198:199], -v[176:177]
	s_waitcnt vmcnt(6) lgkmcnt(0)
	v_mul_f64 v[176:177], v[196:197], v[204:205]
	v_mul_f64 v[204:205], v[194:195], v[204:205]
	v_fma_f64 v[236:237], v[236:237], v[198:199], v[200:201]
	ds_read_b128 v[198:201], v173 offset:3888
	ds_write_b128 v173, v[230:233]
	v_fma_f64 v[194:195], v[194:195], v[202:203], -v[176:177]
	v_fma_f64 v[196:197], v[196:197], v[202:203], v[204:205]
	ds_read_b128 v[202:205], v173 offset:15552
	s_waitcnt vmcnt(5) lgkmcnt(2)
	v_mul_f64 v[176:177], v[200:201], v[208:209]
	v_mul_f64 v[208:209], v[198:199], v[208:209]
	v_fma_f64 v[198:199], v[198:199], v[206:207], -v[176:177]
	s_waitcnt vmcnt(4) lgkmcnt(0)
	v_mul_f64 v[176:177], v[204:205], v[212:213]
	v_fma_f64 v[200:201], v[200:201], v[206:207], v[208:209]
	v_mul_f64 v[212:213], v[202:203], v[212:213]
	ds_read_b128 v[206:209], v173 offset:27216
	s_waitcnt vmcnt(3) lgkmcnt(0)
	v_mul_f64 v[238:239], v[208:209], v[216:217]
	v_fma_f64 v[202:203], v[202:203], v[210:211], -v[176:177]
	v_mul_f64 v[176:177], v[206:207], v[216:217]
	v_fma_f64 v[204:205], v[204:205], v[210:211], v[212:213]
	ds_read_b128 v[210:213], v173 offset:7776
	v_fma_f64 v[206:207], v[206:207], v[214:215], -v[238:239]
	v_fma_f64 v[208:209], v[208:209], v[214:215], v[176:177]
	ds_read_b128 v[214:217], v173 offset:19440
	s_waitcnt vmcnt(2) lgkmcnt(1)
	v_mul_f64 v[176:177], v[212:213], v[220:221]
	v_mul_f64 v[220:221], v[210:211], v[220:221]
	v_fma_f64 v[210:211], v[210:211], v[218:219], -v[176:177]
	v_fma_f64 v[212:213], v[212:213], v[218:219], v[220:221]
	ds_read_b128 v[218:221], v173 offset:31104
	s_waitcnt vmcnt(1) lgkmcnt(1)
	v_mul_f64 v[176:177], v[216:217], v[224:225]
	v_mul_f64 v[224:225], v[214:215], v[224:225]
	s_waitcnt vmcnt(0) lgkmcnt(0)
	v_mul_f64 v[238:239], v[220:221], v[228:229]
	v_mul_f64 v[228:229], v[218:219], v[228:229]
	v_fma_f64 v[214:215], v[214:215], v[222:223], -v[176:177]
	v_fma_f64 v[216:217], v[216:217], v[222:223], v[224:225]
	v_fma_f64 v[218:219], v[218:219], v[226:227], -v[238:239]
	v_fma_f64 v[220:221], v[220:221], v[226:227], v[228:229]
	ds_write_b128 v173, v[234:237] offset:11664
	ds_write_b128 v173, v[194:197] offset:23328
	;; [unrolled: 1-line block ×8, first 2 shown]
	s_waitcnt lgkmcnt(0)
	s_barrier
	ds_read_b128 v[194:197], v173 offset:11664
	ds_read_b128 v[198:201], v173 offset:23328
	;; [unrolled: 1-line block ×3, first 2 shown]
	ds_read_b128 v[206:209], v173
	ds_read_b128 v[210:213], v173 offset:7776
	ds_read_b128 v[214:217], v173 offset:3888
	;; [unrolled: 1-line block ×4, first 2 shown]
	s_waitcnt lgkmcnt(4)
	v_add_f64 v[232:233], v[206:207], v[194:195]
	v_add_f64 v[176:177], v[194:195], v[198:199]
	;; [unrolled: 1-line block ×3, first 2 shown]
	s_waitcnt lgkmcnt(1)
	v_add_f64 v[234:235], v[218:219], v[202:203]
	ds_read_b128 v[226:229], v173 offset:31104
	v_add_f64 v[238:239], v[220:221], v[204:205]
	v_add_f64 v[236:237], v[220:221], -v[204:205]
	v_add_f64 v[220:221], v[216:217], v[220:221]
	s_waitcnt lgkmcnt(0)
	v_fma_f64 v[176:177], v[176:177], -0.5, v[206:207]
	v_add_f64 v[206:207], v[196:197], -v[200:201]
	v_add_f64 v[196:197], v[208:209], v[196:197]
	v_fma_f64 v[208:209], v[230:231], -0.5, v[208:209]
	v_add_f64 v[230:231], v[194:195], -v[198:199]
	v_add_f64 v[194:195], v[232:233], v[198:199]
	v_add_f64 v[232:233], v[214:215], v[218:219]
	v_fma_f64 v[234:235], v[234:235], -0.5, v[214:215]
	v_add_f64 v[218:219], v[218:219], -v[202:203]
	v_fma_f64 v[198:199], v[206:207], s[8:9], v[176:177]
	v_add_f64 v[196:197], v[196:197], v[200:201]
	v_fma_f64 v[206:207], v[206:207], s[6:7], v[176:177]
	v_fma_f64 v[200:201], v[230:231], s[6:7], v[208:209]
	v_add_f64 v[176:177], v[222:223], v[226:227]
	v_fma_f64 v[208:209], v[230:231], s[8:9], v[208:209]
	v_add_f64 v[230:231], v[224:225], v[228:229]
	v_add_f64 v[214:215], v[232:233], v[202:203]
	v_fma_f64 v[232:233], v[238:239], -0.5, v[216:217]
	v_add_f64 v[238:239], v[210:211], v[222:223]
	v_add_f64 v[240:241], v[224:225], -v[228:229]
	v_add_f64 v[224:225], v[212:213], v[224:225]
	v_fma_f64 v[176:177], v[176:177], -0.5, v[210:211]
	v_fma_f64 v[202:203], v[236:237], s[8:9], v[234:235]
	v_fma_f64 v[230:231], v[230:231], -0.5, v[212:213]
	v_fma_f64 v[210:211], v[236:237], s[6:7], v[234:235]
	v_add_f64 v[234:235], v[222:223], -v[226:227]
	v_add_f64 v[216:217], v[220:221], v[204:205]
	v_fma_f64 v[204:205], v[218:219], s[6:7], v[232:233]
	v_fma_f64 v[212:213], v[218:219], s[8:9], v[232:233]
	v_add_f64 v[218:219], v[238:239], v[226:227]
	v_add_f64 v[220:221], v[224:225], v[228:229]
	v_fma_f64 v[222:223], v[240:241], s[8:9], v[176:177]
	v_fma_f64 v[226:227], v[240:241], s[6:7], v[176:177]
	;; [unrolled: 1-line block ×4, first 2 shown]
	s_barrier
	ds_write_b128 v178, v[194:197]
	ds_write_b128 v178, v[198:201] offset:16
	ds_write_b128 v178, v[206:209] offset:32
	ds_write_b128 v179, v[214:217]
	ds_write_b128 v179, v[202:205] offset:16
	ds_write_b128 v179, v[210:213] offset:32
	;; [unrolled: 3-line block ×3, first 2 shown]
	s_waitcnt lgkmcnt(0)
	s_barrier
	ds_read_b128 v[176:179], v173 offset:11664
	ds_read_b128 v[194:197], v173
	ds_read_b128 v[198:201], v173 offset:3888
	ds_read_b128 v[202:205], v173 offset:7776
	;; [unrolled: 1-line block ×4, first 2 shown]
	s_waitcnt lgkmcnt(5)
	v_mul_f64 v[226:227], v[42:43], v[178:179]
	v_mul_f64 v[42:43], v[42:43], v[176:177]
	ds_read_b128 v[214:217], v173 offset:15552
	ds_read_b128 v[218:221], v173 offset:19440
	s_waitcnt lgkmcnt(3)
	v_mul_f64 v[228:229], v[38:39], v[208:209]
	v_mul_f64 v[38:39], v[38:39], v[206:207]
	ds_read_b128 v[222:225], v173 offset:31104
	s_waitcnt lgkmcnt(0)
	s_barrier
	v_fma_f64 v[176:177], v[40:41], v[176:177], v[226:227]
	v_mul_f64 v[226:227], v[54:55], v[216:217]
	v_fma_f64 v[40:41], v[40:41], v[178:179], -v[42:43]
	v_mul_f64 v[42:43], v[54:55], v[214:215]
	v_mul_f64 v[54:55], v[46:47], v[212:213]
	v_fma_f64 v[178:179], v[36:37], v[206:207], v[228:229]
	v_mul_f64 v[46:47], v[46:47], v[210:211]
	v_fma_f64 v[38:39], v[36:37], v[208:209], -v[38:39]
	v_mul_f64 v[36:37], v[58:59], v[220:221]
	v_fma_f64 v[206:207], v[52:53], v[214:215], v[226:227]
	v_mul_f64 v[58:59], v[58:59], v[218:219]
	v_fma_f64 v[208:209], v[52:53], v[216:217], -v[42:43]
	v_fma_f64 v[54:55], v[44:45], v[210:211], v[54:55]
	v_add_f64 v[42:43], v[176:177], v[178:179]
	v_fma_f64 v[210:211], v[44:45], v[212:213], -v[46:47]
	v_mul_f64 v[44:45], v[50:51], v[224:225]
	v_fma_f64 v[212:213], v[56:57], v[218:219], v[36:37]
	v_mul_f64 v[36:37], v[50:51], v[222:223]
	v_add_f64 v[46:47], v[40:41], v[38:39]
	v_add_f64 v[52:53], v[194:195], v[176:177]
	v_fma_f64 v[50:51], v[56:57], v[220:221], -v[58:59]
	v_fma_f64 v[42:43], v[42:43], -0.5, v[194:195]
	v_add_f64 v[56:57], v[40:41], -v[38:39]
	v_fma_f64 v[194:195], v[48:49], v[222:223], v[44:45]
	v_add_f64 v[44:45], v[206:207], v[54:55]
	v_fma_f64 v[214:215], v[48:49], v[224:225], -v[36:37]
	v_add_f64 v[48:49], v[196:197], v[40:41]
	v_fma_f64 v[46:47], v[46:47], -0.5, v[196:197]
	v_add_f64 v[58:59], v[176:177], -v[178:179]
	v_add_f64 v[36:37], v[52:53], v[178:179]
	v_add_f64 v[52:53], v[198:199], v[206:207]
	v_add_f64 v[178:179], v[208:209], -v[210:211]
	v_fma_f64 v[176:177], v[44:45], -0.5, v[198:199]
	v_add_f64 v[196:197], v[208:209], v[210:211]
	v_fma_f64 v[40:41], v[56:57], s[8:9], v[42:43]
	v_fma_f64 v[44:45], v[56:57], s[6:7], v[42:43]
	v_add_f64 v[38:39], v[48:49], v[38:39]
	v_fma_f64 v[42:43], v[58:59], s[6:7], v[46:47]
	v_fma_f64 v[46:47], v[58:59], s[8:9], v[46:47]
	v_add_f64 v[48:49], v[52:53], v[54:55]
	v_add_f64 v[58:59], v[212:213], v[194:195]
	v_fma_f64 v[52:53], v[178:179], s[8:9], v[176:177]
	v_fma_f64 v[56:57], v[178:179], s[6:7], v[176:177]
	v_add_f64 v[176:177], v[50:51], v[214:215]
	v_add_f64 v[178:179], v[200:201], v[208:209]
	v_fma_f64 v[196:197], v[196:197], -0.5, v[200:201]
	v_add_f64 v[198:199], v[206:207], -v[54:55]
	v_add_f64 v[200:201], v[202:203], v[212:213]
	v_add_f64 v[208:209], v[204:205], v[50:51]
	v_fma_f64 v[202:203], v[58:59], -0.5, v[202:203]
	v_add_f64 v[206:207], v[50:51], -v[214:215]
	v_fma_f64 v[204:205], v[176:177], -0.5, v[204:205]
	v_add_f64 v[212:213], v[212:213], -v[194:195]
	v_add_f64 v[50:51], v[178:179], v[210:211]
	v_fma_f64 v[54:55], v[198:199], s[6:7], v[196:197]
	v_fma_f64 v[58:59], v[198:199], s[8:9], v[196:197]
	v_add_f64 v[176:177], v[200:201], v[194:195]
	v_add_f64 v[178:179], v[208:209], v[214:215]
	v_fma_f64 v[194:195], v[206:207], s[8:9], v[202:203]
	v_fma_f64 v[198:199], v[206:207], s[6:7], v[202:203]
	;; [unrolled: 1-line block ×4, first 2 shown]
	ds_write_b128 v181, v[36:39]
	ds_write_b128 v181, v[40:43] offset:48
	ds_write_b128 v181, v[44:47] offset:96
	ds_write_b128 v182, v[48:51]
	ds_write_b128 v182, v[52:55] offset:48
	ds_write_b128 v182, v[56:59] offset:96
	;; [unrolled: 3-line block ×3, first 2 shown]
	s_waitcnt lgkmcnt(0)
	s_barrier
	ds_read_b128 v[36:39], v173 offset:11664
	ds_read_b128 v[40:43], v173
	ds_read_b128 v[44:47], v173 offset:3888
	ds_read_b128 v[48:51], v173 offset:7776
	;; [unrolled: 1-line block ×4, first 2 shown]
	s_waitcnt lgkmcnt(5)
	v_mul_f64 v[198:199], v[66:67], v[38:39]
	v_mul_f64 v[66:67], v[66:67], v[36:37]
	ds_read_b128 v[176:179], v173 offset:15552
	ds_read_b128 v[180:183], v173 offset:19440
	s_waitcnt lgkmcnt(3)
	v_mul_f64 v[200:201], v[62:63], v[54:55]
	v_mul_f64 v[62:63], v[62:63], v[52:53]
	ds_read_b128 v[194:197], v173 offset:31104
	s_waitcnt lgkmcnt(0)
	s_barrier
	v_fma_f64 v[36:37], v[64:65], v[36:37], v[198:199]
	v_fma_f64 v[38:39], v[64:65], v[38:39], -v[66:67]
	v_mul_f64 v[66:67], v[70:71], v[58:59]
	v_fma_f64 v[52:53], v[60:61], v[52:53], v[200:201]
	v_mul_f64 v[198:199], v[78:79], v[178:179]
	v_mul_f64 v[64:65], v[78:79], v[176:177]
	;; [unrolled: 1-line block ×3, first 2 shown]
	v_fma_f64 v[54:55], v[60:61], v[54:55], -v[62:63]
	v_mul_f64 v[60:61], v[82:83], v[182:183]
	v_mul_f64 v[78:79], v[82:83], v[180:181]
	v_fma_f64 v[66:67], v[68:69], v[56:57], v[66:67]
	v_add_f64 v[56:57], v[36:37], v[52:53]
	v_fma_f64 v[62:63], v[76:77], v[176:177], v[198:199]
	v_fma_f64 v[64:65], v[76:77], v[178:179], -v[64:65]
	v_fma_f64 v[58:59], v[68:69], v[58:59], -v[70:71]
	v_mul_f64 v[68:69], v[74:75], v[196:197]
	v_fma_f64 v[70:71], v[80:81], v[180:181], v[60:61]
	v_mul_f64 v[60:61], v[74:75], v[194:195]
	v_fma_f64 v[74:75], v[80:81], v[182:183], -v[78:79]
	v_add_f64 v[76:77], v[38:39], v[54:55]
	v_add_f64 v[78:79], v[40:41], v[36:37]
	v_fma_f64 v[56:57], v[56:57], -0.5, v[40:41]
	v_add_f64 v[80:81], v[38:39], -v[54:55]
	v_add_f64 v[82:83], v[62:63], v[66:67]
	v_fma_f64 v[68:69], v[72:73], v[194:195], v[68:69]
	v_fma_f64 v[72:73], v[72:73], v[196:197], -v[60:61]
	v_add_f64 v[38:39], v[42:43], v[38:39]
	v_fma_f64 v[60:61], v[76:77], -0.5, v[42:43]
	v_add_f64 v[76:77], v[36:37], -v[52:53]
	v_add_f64 v[36:37], v[78:79], v[52:53]
	v_add_f64 v[78:79], v[44:45], v[62:63]
	v_fma_f64 v[40:41], v[80:81], s[8:9], v[56:57]
	v_fma_f64 v[52:53], v[80:81], s[6:7], v[56:57]
	v_add_f64 v[80:81], v[64:65], v[58:59]
	v_fma_f64 v[82:83], v[82:83], -0.5, v[44:45]
	v_add_f64 v[176:177], v[64:65], -v[58:59]
	v_add_f64 v[38:39], v[38:39], v[54:55]
	v_fma_f64 v[42:43], v[76:77], s[6:7], v[60:61]
	v_fma_f64 v[54:55], v[76:77], s[8:9], v[60:61]
	v_add_f64 v[44:45], v[78:79], v[66:67]
	v_add_f64 v[76:77], v[70:71], v[68:69]
	;; [unrolled: 1-line block ×4, first 2 shown]
	v_fma_f64 v[80:81], v[80:81], -0.5, v[46:47]
	v_add_f64 v[62:63], v[62:63], -v[66:67]
	v_fma_f64 v[56:57], v[176:177], s[8:9], v[82:83]
	v_fma_f64 v[60:61], v[176:177], s[6:7], v[82:83]
	v_add_f64 v[66:67], v[48:49], v[70:71]
	v_add_f64 v[82:83], v[74:75], -v[72:73]
	v_add_f64 v[74:75], v[50:51], v[74:75]
	v_fma_f64 v[76:77], v[76:77], -0.5, v[48:49]
	v_fma_f64 v[78:79], v[78:79], -0.5, v[50:51]
	v_add_f64 v[70:71], v[70:71], -v[68:69]
	v_add_f64 v[46:47], v[64:65], v[58:59]
	v_fma_f64 v[58:59], v[62:63], s[6:7], v[80:81]
	v_fma_f64 v[62:63], v[62:63], s[8:9], v[80:81]
	v_add_f64 v[48:49], v[66:67], v[68:69]
	v_add_f64 v[50:51], v[74:75], v[72:73]
	v_fma_f64 v[64:65], v[82:83], s[8:9], v[76:77]
	v_fma_f64 v[68:69], v[82:83], s[6:7], v[76:77]
	;; [unrolled: 1-line block ×4, first 2 shown]
	ds_write_b128 v184, v[36:39]
	ds_write_b128 v184, v[40:43] offset:144
	ds_write_b128 v184, v[52:55] offset:288
	ds_write_b128 v185, v[44:47]
	ds_write_b128 v185, v[56:59] offset:144
	ds_write_b128 v185, v[60:63] offset:288
	;; [unrolled: 3-line block ×3, first 2 shown]
	s_waitcnt lgkmcnt(0)
	s_barrier
	ds_read_b128 v[36:39], v173 offset:11664
	ds_read_b128 v[40:43], v173
	ds_read_b128 v[44:47], v173 offset:3888
	ds_read_b128 v[48:51], v173 offset:7776
	;; [unrolled: 1-line block ×4, first 2 shown]
	s_waitcnt lgkmcnt(5)
	v_mul_f64 v[72:73], v[90:91], v[38:39]
	v_mul_f64 v[74:75], v[90:91], v[36:37]
	ds_read_b128 v[60:63], v173 offset:15552
	ds_read_b128 v[64:67], v173 offset:19440
	s_waitcnt lgkmcnt(3)
	v_mul_f64 v[76:77], v[86:87], v[54:55]
	v_mul_f64 v[78:79], v[86:87], v[52:53]
	s_waitcnt lgkmcnt(2)
	v_mul_f64 v[80:81], v[94:95], v[58:59]
	ds_read_b128 v[68:71], v173 offset:31104
	s_waitcnt lgkmcnt(0)
	v_fma_f64 v[36:37], v[88:89], v[36:37], v[72:73]
	v_mul_f64 v[72:73], v[102:103], v[62:63]
	v_fma_f64 v[38:39], v[88:89], v[38:39], -v[74:75]
	v_mul_f64 v[74:75], v[102:103], v[60:61]
	v_fma_f64 v[52:53], v[84:85], v[52:53], v[76:77]
	v_mul_f64 v[76:77], v[94:95], v[56:57]
	v_fma_f64 v[54:55], v[84:85], v[54:55], -v[78:79]
	v_mul_f64 v[78:79], v[106:107], v[66:67]
	s_barrier
	v_fma_f64 v[72:73], v[100:101], v[60:61], v[72:73]
	v_mul_f64 v[60:61], v[106:107], v[64:65]
	v_fma_f64 v[62:63], v[100:101], v[62:63], -v[74:75]
	v_fma_f64 v[74:75], v[92:93], v[56:57], v[80:81]
	v_fma_f64 v[58:59], v[92:93], v[58:59], -v[76:77]
	v_mul_f64 v[76:77], v[98:99], v[70:71]
	v_add_f64 v[56:57], v[36:37], v[52:53]
	v_fma_f64 v[64:65], v[104:105], v[64:65], v[78:79]
	v_mul_f64 v[78:79], v[98:99], v[68:69]
	v_fma_f64 v[66:67], v[104:105], v[66:67], -v[60:61]
	v_add_f64 v[60:61], v[38:39], v[54:55]
	v_add_f64 v[80:81], v[40:41], v[36:37]
	v_add_f64 v[82:83], v[38:39], -v[54:55]
	v_fma_f64 v[68:69], v[96:97], v[68:69], v[76:77]
	v_add_f64 v[76:77], v[72:73], v[74:75]
	v_fma_f64 v[56:57], v[56:57], -0.5, v[40:41]
	v_fma_f64 v[70:71], v[96:97], v[70:71], -v[78:79]
	v_add_f64 v[38:39], v[42:43], v[38:39]
	v_fma_f64 v[60:61], v[60:61], -0.5, v[42:43]
	v_add_f64 v[78:79], v[36:37], -v[52:53]
	v_add_f64 v[84:85], v[62:63], -v[58:59]
	v_add_f64 v[36:37], v[80:81], v[52:53]
	v_fma_f64 v[76:77], v[76:77], -0.5, v[44:45]
	v_fma_f64 v[40:41], v[82:83], s[8:9], v[56:57]
	v_add_f64 v[80:81], v[44:45], v[72:73]
	v_fma_f64 v[52:53], v[82:83], s[6:7], v[56:57]
	v_add_f64 v[82:83], v[62:63], v[58:59]
	v_add_f64 v[38:39], v[38:39], v[54:55]
	v_fma_f64 v[42:43], v[78:79], s[6:7], v[60:61]
	v_fma_f64 v[54:55], v[78:79], s[8:9], v[60:61]
	v_add_f64 v[78:79], v[64:65], v[68:69]
	v_fma_f64 v[56:57], v[84:85], s[8:9], v[76:77]
	v_fma_f64 v[60:61], v[84:85], s[6:7], v[76:77]
	v_add_f64 v[76:77], v[66:67], v[70:71]
	v_add_f64 v[62:63], v[46:47], v[62:63]
	;; [unrolled: 1-line block ×3, first 2 shown]
	v_fma_f64 v[80:81], v[82:83], -0.5, v[46:47]
	v_add_f64 v[72:73], v[72:73], -v[74:75]
	v_add_f64 v[74:75], v[48:49], v[64:65]
	v_add_f64 v[82:83], v[66:67], -v[70:71]
	v_add_f64 v[66:67], v[50:51], v[66:67]
	v_fma_f64 v[78:79], v[78:79], -0.5, v[48:49]
	v_fma_f64 v[76:77], v[76:77], -0.5, v[50:51]
	v_add_f64 v[84:85], v[64:65], -v[68:69]
	v_add_f64 v[46:47], v[62:63], v[58:59]
	v_fma_f64 v[58:59], v[72:73], s[6:7], v[80:81]
	v_fma_f64 v[62:63], v[72:73], s[8:9], v[80:81]
	v_add_f64 v[48:49], v[74:75], v[68:69]
	v_add_f64 v[50:51], v[66:67], v[70:71]
	v_fma_f64 v[64:65], v[82:83], s[8:9], v[78:79]
	v_fma_f64 v[68:69], v[82:83], s[6:7], v[78:79]
	;; [unrolled: 1-line block ×4, first 2 shown]
	ds_write_b128 v187, v[36:39]
	ds_write_b128 v187, v[40:43] offset:432
	ds_write_b128 v187, v[52:55] offset:864
	ds_write_b128 v188, v[44:47]
	ds_write_b128 v188, v[56:59] offset:432
	ds_write_b128 v188, v[60:63] offset:864
	;; [unrolled: 3-line block ×3, first 2 shown]
	s_waitcnt lgkmcnt(0)
	s_barrier
	ds_read_b128 v[36:39], v173 offset:11664
	ds_read_b128 v[40:43], v173
	ds_read_b128 v[44:47], v173 offset:3888
	ds_read_b128 v[48:51], v173 offset:7776
	;; [unrolled: 1-line block ×4, first 2 shown]
	s_waitcnt lgkmcnt(5)
	v_mul_f64 v[72:73], v[114:115], v[38:39]
	v_mul_f64 v[74:75], v[114:115], v[36:37]
	ds_read_b128 v[60:63], v173 offset:15552
	ds_read_b128 v[64:67], v173 offset:19440
	s_waitcnt lgkmcnt(3)
	v_mul_f64 v[76:77], v[110:111], v[54:55]
	v_mul_f64 v[78:79], v[110:111], v[52:53]
	s_waitcnt lgkmcnt(2)
	v_mul_f64 v[80:81], v[118:119], v[58:59]
	ds_read_b128 v[68:71], v173 offset:31104
	s_waitcnt lgkmcnt(0)
	v_fma_f64 v[36:37], v[112:113], v[36:37], v[72:73]
	v_mul_f64 v[72:73], v[126:127], v[62:63]
	v_fma_f64 v[38:39], v[112:113], v[38:39], -v[74:75]
	v_mul_f64 v[74:75], v[126:127], v[60:61]
	v_fma_f64 v[52:53], v[108:109], v[52:53], v[76:77]
	v_mul_f64 v[76:77], v[118:119], v[56:57]
	v_fma_f64 v[54:55], v[108:109], v[54:55], -v[78:79]
	v_mul_f64 v[78:79], v[130:131], v[66:67]
	s_barrier
	v_fma_f64 v[72:73], v[124:125], v[60:61], v[72:73]
	v_mul_f64 v[60:61], v[130:131], v[64:65]
	v_fma_f64 v[62:63], v[124:125], v[62:63], -v[74:75]
	v_fma_f64 v[74:75], v[116:117], v[56:57], v[80:81]
	v_fma_f64 v[58:59], v[116:117], v[58:59], -v[76:77]
	v_mul_f64 v[76:77], v[122:123], v[70:71]
	v_add_f64 v[56:57], v[36:37], v[52:53]
	v_fma_f64 v[64:65], v[128:129], v[64:65], v[78:79]
	v_mul_f64 v[78:79], v[122:123], v[68:69]
	v_fma_f64 v[66:67], v[128:129], v[66:67], -v[60:61]
	v_add_f64 v[60:61], v[38:39], v[54:55]
	v_add_f64 v[80:81], v[40:41], v[36:37]
	v_add_f64 v[82:83], v[38:39], -v[54:55]
	v_fma_f64 v[68:69], v[120:121], v[68:69], v[76:77]
	v_add_f64 v[76:77], v[72:73], v[74:75]
	v_fma_f64 v[56:57], v[56:57], -0.5, v[40:41]
	v_fma_f64 v[70:71], v[120:121], v[70:71], -v[78:79]
	v_add_f64 v[38:39], v[42:43], v[38:39]
	v_fma_f64 v[60:61], v[60:61], -0.5, v[42:43]
	v_add_f64 v[78:79], v[36:37], -v[52:53]
	v_add_f64 v[84:85], v[62:63], -v[58:59]
	v_add_f64 v[36:37], v[80:81], v[52:53]
	v_fma_f64 v[76:77], v[76:77], -0.5, v[44:45]
	v_fma_f64 v[40:41], v[82:83], s[8:9], v[56:57]
	v_add_f64 v[80:81], v[44:45], v[72:73]
	v_fma_f64 v[52:53], v[82:83], s[6:7], v[56:57]
	v_add_f64 v[82:83], v[62:63], v[58:59]
	v_add_f64 v[38:39], v[38:39], v[54:55]
	v_fma_f64 v[42:43], v[78:79], s[6:7], v[60:61]
	v_fma_f64 v[54:55], v[78:79], s[8:9], v[60:61]
	v_add_f64 v[78:79], v[64:65], v[68:69]
	v_fma_f64 v[56:57], v[84:85], s[8:9], v[76:77]
	v_fma_f64 v[60:61], v[84:85], s[6:7], v[76:77]
	v_add_f64 v[76:77], v[66:67], v[70:71]
	v_add_f64 v[62:63], v[46:47], v[62:63]
	;; [unrolled: 1-line block ×3, first 2 shown]
	v_fma_f64 v[80:81], v[82:83], -0.5, v[46:47]
	v_add_f64 v[72:73], v[72:73], -v[74:75]
	v_add_f64 v[74:75], v[48:49], v[64:65]
	v_add_f64 v[82:83], v[66:67], -v[70:71]
	v_add_f64 v[66:67], v[50:51], v[66:67]
	v_fma_f64 v[78:79], v[78:79], -0.5, v[48:49]
	v_fma_f64 v[76:77], v[76:77], -0.5, v[50:51]
	v_add_f64 v[84:85], v[64:65], -v[68:69]
	v_add_f64 v[46:47], v[62:63], v[58:59]
	v_fma_f64 v[58:59], v[72:73], s[6:7], v[80:81]
	v_fma_f64 v[62:63], v[72:73], s[8:9], v[80:81]
	v_add_f64 v[48:49], v[74:75], v[68:69]
	v_add_f64 v[50:51], v[66:67], v[70:71]
	v_fma_f64 v[64:65], v[82:83], s[8:9], v[78:79]
	v_fma_f64 v[68:69], v[82:83], s[6:7], v[78:79]
	;; [unrolled: 1-line block ×4, first 2 shown]
	ds_write_b128 v190, v[36:39]
	ds_write_b128 v190, v[40:43] offset:1296
	ds_write_b128 v190, v[52:55] offset:2592
	ds_write_b128 v191, v[44:47]
	ds_write_b128 v191, v[56:59] offset:1296
	ds_write_b128 v191, v[60:63] offset:2592
	;; [unrolled: 3-line block ×3, first 2 shown]
	s_waitcnt lgkmcnt(0)
	s_barrier
	ds_read_b128 v[36:39], v173 offset:11664
	ds_read_b128 v[40:43], v173
	ds_read_b128 v[44:47], v173 offset:3888
	ds_read_b128 v[48:51], v173 offset:7776
	;; [unrolled: 1-line block ×4, first 2 shown]
	s_waitcnt lgkmcnt(5)
	v_mul_f64 v[72:73], v[138:139], v[38:39]
	v_mul_f64 v[74:75], v[138:139], v[36:37]
	ds_read_b128 v[60:63], v173 offset:15552
	ds_read_b128 v[64:67], v173 offset:19440
	s_waitcnt lgkmcnt(3)
	v_mul_f64 v[76:77], v[134:135], v[54:55]
	v_mul_f64 v[78:79], v[134:135], v[52:53]
	s_waitcnt lgkmcnt(2)
	v_mul_f64 v[80:81], v[134:135], v[58:59]
	ds_read_b128 v[68:71], v173 offset:31104
	s_waitcnt lgkmcnt(0)
	v_fma_f64 v[36:37], v[136:137], v[36:37], v[72:73]
	v_mul_f64 v[72:73], v[138:139], v[62:63]
	v_fma_f64 v[38:39], v[136:137], v[38:39], -v[74:75]
	v_mul_f64 v[74:75], v[138:139], v[60:61]
	v_fma_f64 v[52:53], v[132:133], v[52:53], v[76:77]
	v_mul_f64 v[76:77], v[134:135], v[56:57]
	v_fma_f64 v[54:55], v[132:133], v[54:55], -v[78:79]
	v_mul_f64 v[78:79], v[146:147], v[66:67]
	s_barrier
	v_fma_f64 v[72:73], v[136:137], v[60:61], v[72:73]
	v_mul_f64 v[60:61], v[146:147], v[64:65]
	v_fma_f64 v[62:63], v[136:137], v[62:63], -v[74:75]
	v_fma_f64 v[74:75], v[132:133], v[56:57], v[80:81]
	v_fma_f64 v[58:59], v[132:133], v[58:59], -v[76:77]
	v_mul_f64 v[76:77], v[142:143], v[70:71]
	v_add_f64 v[56:57], v[36:37], v[52:53]
	v_fma_f64 v[64:65], v[144:145], v[64:65], v[78:79]
	v_mul_f64 v[78:79], v[142:143], v[68:69]
	v_fma_f64 v[66:67], v[144:145], v[66:67], -v[60:61]
	v_add_f64 v[60:61], v[38:39], v[54:55]
	v_add_f64 v[80:81], v[40:41], v[36:37]
	v_add_f64 v[82:83], v[38:39], -v[54:55]
	v_fma_f64 v[68:69], v[140:141], v[68:69], v[76:77]
	v_add_f64 v[76:77], v[72:73], v[74:75]
	v_fma_f64 v[56:57], v[56:57], -0.5, v[40:41]
	v_fma_f64 v[70:71], v[140:141], v[70:71], -v[78:79]
	v_add_f64 v[38:39], v[42:43], v[38:39]
	v_fma_f64 v[60:61], v[60:61], -0.5, v[42:43]
	v_add_f64 v[78:79], v[36:37], -v[52:53]
	v_add_f64 v[84:85], v[62:63], -v[58:59]
	v_add_f64 v[36:37], v[80:81], v[52:53]
	v_fma_f64 v[76:77], v[76:77], -0.5, v[44:45]
	v_fma_f64 v[40:41], v[82:83], s[8:9], v[56:57]
	v_add_f64 v[80:81], v[44:45], v[72:73]
	v_fma_f64 v[52:53], v[82:83], s[6:7], v[56:57]
	v_add_f64 v[82:83], v[62:63], v[58:59]
	v_add_f64 v[38:39], v[38:39], v[54:55]
	v_fma_f64 v[42:43], v[78:79], s[6:7], v[60:61]
	v_fma_f64 v[54:55], v[78:79], s[8:9], v[60:61]
	v_add_f64 v[78:79], v[64:65], v[68:69]
	v_fma_f64 v[56:57], v[84:85], s[8:9], v[76:77]
	v_fma_f64 v[60:61], v[84:85], s[6:7], v[76:77]
	v_add_f64 v[76:77], v[66:67], v[70:71]
	v_add_f64 v[62:63], v[46:47], v[62:63]
	;; [unrolled: 1-line block ×3, first 2 shown]
	v_fma_f64 v[80:81], v[82:83], -0.5, v[46:47]
	v_add_f64 v[72:73], v[72:73], -v[74:75]
	v_add_f64 v[74:75], v[48:49], v[64:65]
	v_add_f64 v[82:83], v[66:67], -v[70:71]
	v_add_f64 v[66:67], v[50:51], v[66:67]
	v_fma_f64 v[78:79], v[78:79], -0.5, v[48:49]
	v_fma_f64 v[76:77], v[76:77], -0.5, v[50:51]
	v_add_f64 v[84:85], v[64:65], -v[68:69]
	v_add_f64 v[46:47], v[62:63], v[58:59]
	v_fma_f64 v[58:59], v[72:73], s[6:7], v[80:81]
	v_fma_f64 v[62:63], v[72:73], s[8:9], v[80:81]
	v_add_f64 v[48:49], v[74:75], v[68:69]
	v_add_f64 v[50:51], v[66:67], v[70:71]
	v_fma_f64 v[64:65], v[82:83], s[8:9], v[78:79]
	v_fma_f64 v[68:69], v[82:83], s[6:7], v[78:79]
	;; [unrolled: 1-line block ×4, first 2 shown]
	ds_write_b128 v173, v[36:39]
	ds_write_b128 v173, v[40:43] offset:3888
	ds_write_b128 v173, v[52:55] offset:7776
	;; [unrolled: 1-line block ×8, first 2 shown]
	s_waitcnt lgkmcnt(0)
	s_barrier
	ds_read_b128 v[36:39], v173 offset:11664
	ds_read_b128 v[40:43], v173
	ds_read_b128 v[44:47], v173 offset:3888
	ds_read_b128 v[48:51], v173 offset:7776
	;; [unrolled: 1-line block ×7, first 2 shown]
	s_waitcnt lgkmcnt(8)
	v_mul_f64 v[74:75], v[154:155], v[38:39]
	v_mul_f64 v[76:77], v[154:155], v[36:37]
	s_waitcnt lgkmcnt(4)
	v_mul_f64 v[78:79], v[150:151], v[54:55]
	v_mul_f64 v[80:81], v[150:151], v[52:53]
	s_waitcnt lgkmcnt(3)
	v_mul_f64 v[82:83], v[158:159], v[58:59]
	v_mad_u64_u32 v[72:73], s[10:11], s2, v172, 0
	v_fma_f64 v[36:37], v[152:153], v[36:37], v[74:75]
	s_waitcnt lgkmcnt(2)
	v_mul_f64 v[74:75], v[166:167], v[62:63]
	v_fma_f64 v[38:39], v[152:153], v[38:39], -v[76:77]
	v_mul_f64 v[76:77], v[166:167], v[60:61]
	v_fma_f64 v[52:53], v[148:149], v[52:53], v[78:79]
	v_mul_f64 v[78:79], v[158:159], v[56:57]
	v_fma_f64 v[54:55], v[148:149], v[54:55], -v[80:81]
	s_waitcnt lgkmcnt(1)
	v_mul_f64 v[80:81], v[170:171], v[66:67]
	v_fma_f64 v[74:75], v[164:165], v[60:61], v[74:75]
	v_mul_f64 v[60:61], v[170:171], v[64:65]
	v_fma_f64 v[62:63], v[164:165], v[62:63], -v[76:77]
	v_fma_f64 v[76:77], v[156:157], v[56:57], v[82:83]
	v_fma_f64 v[58:59], v[156:157], v[58:59], -v[78:79]
	s_waitcnt lgkmcnt(0)
	v_mul_f64 v[78:79], v[162:163], v[70:71]
	v_add_f64 v[56:57], v[36:37], v[52:53]
	v_fma_f64 v[64:65], v[168:169], v[64:65], v[80:81]
	v_mul_f64 v[80:81], v[162:163], v[68:69]
	v_fma_f64 v[66:67], v[168:169], v[66:67], -v[60:61]
	v_add_f64 v[60:61], v[38:39], v[54:55]
	v_add_f64 v[82:83], v[40:41], v[36:37]
	v_add_f64 v[84:85], v[38:39], -v[54:55]
	v_fma_f64 v[68:69], v[160:161], v[68:69], v[78:79]
	v_add_f64 v[78:79], v[74:75], v[76:77]
	v_fma_f64 v[56:57], v[56:57], -0.5, v[40:41]
	v_fma_f64 v[70:71], v[160:161], v[70:71], -v[80:81]
	v_add_f64 v[38:39], v[42:43], v[38:39]
	v_fma_f64 v[60:61], v[60:61], -0.5, v[42:43]
	v_add_f64 v[80:81], v[36:37], -v[52:53]
	v_add_f64 v[86:87], v[62:63], -v[58:59]
	v_add_f64 v[36:37], v[82:83], v[52:53]
	v_fma_f64 v[78:79], v[78:79], -0.5, v[44:45]
	v_fma_f64 v[40:41], v[84:85], s[8:9], v[56:57]
	v_add_f64 v[82:83], v[44:45], v[74:75]
	v_fma_f64 v[52:53], v[84:85], s[6:7], v[56:57]
	v_add_f64 v[84:85], v[62:63], v[58:59]
	v_add_f64 v[38:39], v[38:39], v[54:55]
	v_fma_f64 v[42:43], v[80:81], s[6:7], v[60:61]
	v_fma_f64 v[54:55], v[80:81], s[8:9], v[60:61]
	v_add_f64 v[80:81], v[64:65], v[68:69]
	v_fma_f64 v[56:57], v[86:87], s[8:9], v[78:79]
	v_fma_f64 v[60:61], v[86:87], s[6:7], v[78:79]
	v_add_f64 v[78:79], v[66:67], v[70:71]
	v_add_f64 v[62:63], v[46:47], v[62:63]
	;; [unrolled: 1-line block ×3, first 2 shown]
	v_fma_f64 v[82:83], v[84:85], -0.5, v[46:47]
	v_add_f64 v[74:75], v[74:75], -v[76:77]
	v_add_f64 v[76:77], v[48:49], v[64:65]
	v_add_f64 v[84:85], v[66:67], -v[70:71]
	v_add_f64 v[66:67], v[50:51], v[66:67]
	v_fma_f64 v[80:81], v[80:81], -0.5, v[48:49]
	v_fma_f64 v[78:79], v[78:79], -0.5, v[50:51]
	v_add_f64 v[86:87], v[64:65], -v[68:69]
	v_add_f64 v[46:47], v[62:63], v[58:59]
	v_fma_f64 v[58:59], v[74:75], s[6:7], v[82:83]
	v_fma_f64 v[62:63], v[74:75], s[8:9], v[82:83]
	v_add_f64 v[48:49], v[76:77], v[68:69]
	v_add_f64 v[50:51], v[66:67], v[70:71]
	v_fma_f64 v[64:65], v[84:85], s[8:9], v[80:81]
	v_fma_f64 v[68:69], v[84:85], s[6:7], v[80:81]
	;; [unrolled: 1-line block ×4, first 2 shown]
	ds_write_b128 v173, v[36:39]
	ds_write_b128 v173, v[40:43] offset:11664
	ds_write_b128 v173, v[52:55] offset:23328
	;; [unrolled: 1-line block ×8, first 2 shown]
	s_waitcnt lgkmcnt(0)
	s_barrier
	ds_read_b128 v[36:39], v173
	v_mov_b32_e32 v40, v73
	v_mad_u64_u32 v[46:47], s[2:3], s3, v172, v[40:41]
	ds_read_b128 v[40:43], v173 offset:3888
	s_waitcnt lgkmcnt(1)
	v_mul_f64 v[44:45], v[34:35], v[38:39]
	v_mul_f64 v[34:35], v[34:35], v[36:37]
	v_mad_u64_u32 v[48:49], s[2:3], s0, v175, 0
	s_mov_b32 s2, 0x80feb65f
	s_mov_b32 s3, 0x3f3df756
	v_mov_b32_e32 v73, v46
	v_lshlrev_b64 v[50:51], 4, v[72:73]
	v_fma_f64 v[36:37], v[32:33], v[36:37], v[44:45]
	v_fma_f64 v[34:35], v[32:33], v[38:39], -v[34:35]
	v_mov_b32_e32 v32, v49
	v_mad_u64_u32 v[44:45], s[6:7], s1, v175, v[32:33]
	v_mov_b32_e32 v54, s5
	v_add_co_u32_e32 v55, vcc, s4, v50
	v_mul_f64 v[32:33], v[36:37], s[2:3]
	ds_read_b128 v[36:39], v173 offset:11664
	v_mov_b32_e32 v49, v44
	ds_read_b128 v[44:47], v173 offset:7776
	v_mul_f64 v[34:35], v[34:35], s[2:3]
	v_addc_co_u32_e32 v54, vcc, v54, v51, vcc
	s_waitcnt lgkmcnt(1)
	v_mul_f64 v[52:53], v[2:3], v[38:39]
	v_mul_f64 v[2:3], v[2:3], v[36:37]
	v_lshlrev_b64 v[48:49], 4, v[48:49]
	s_mul_i32 s4, s1, 0x2d90
	v_add_co_u32_e32 v48, vcc, v55, v48
	v_addc_co_u32_e32 v49, vcc, v54, v49, vcc
	v_fma_f64 v[36:37], v[0:1], v[36:37], v[52:53]
	v_fma_f64 v[50:51], v[0:1], v[38:39], -v[2:3]
	ds_read_b128 v[0:3], v173 offset:23328
	global_store_dwordx4 v[48:49], v[32:35], off
	s_mul_hi_u32 s5, s0, 0x2d90
	s_add_i32 s6, s5, s4
	s_mul_i32 s7, s0, 0x2d90
	v_mov_b32_e32 v54, s6
	v_mul_f64 v[32:33], v[36:37], s[2:3]
	ds_read_b128 v[36:39], v173 offset:27216
	s_waitcnt lgkmcnt(1)
	v_mul_f64 v[52:53], v[6:7], v[2:3]
	v_mul_f64 v[6:7], v[6:7], v[0:1]
	;; [unrolled: 1-line block ×5, first 2 shown]
	v_add_co_u32_e32 v48, vcc, s7, v48
	v_addc_co_u32_e32 v49, vcc, v49, v54, vcc
	v_fma_f64 v[0:1], v[4:5], v[0:1], v[52:53]
	v_fma_f64 v[2:3], v[4:5], v[2:3], -v[6:7]
	ds_read_b128 v[4:7], v173 offset:15552
	global_store_dwordx4 v[48:49], v[32:35], off
	v_mov_b32_e32 v52, s6
	v_fma_f64 v[32:33], v[8:9], v[40:41], v[50:51]
	v_fma_f64 v[34:35], v[8:9], v[42:43], -v[10:11]
	ds_read_b128 v[8:11], v173 offset:19440
	v_mul_f64 v[0:1], v[0:1], s[2:3]
	v_mul_f64 v[2:3], v[2:3], s[2:3]
	s_waitcnt lgkmcnt(1)
	v_mul_f64 v[40:41], v[14:15], v[6:7]
	v_mul_f64 v[14:15], v[14:15], v[4:5]
	v_add_co_u32_e32 v42, vcc, s7, v48
	v_addc_co_u32_e32 v43, vcc, v49, v52, vcc
	s_mulk_i32 s1, 0xb410
	global_store_dwordx4 v[42:43], v[0:3], off
	v_fma_f64 v[4:5], v[12:13], v[4:5], v[40:41]
	v_mul_f64 v[0:1], v[32:33], s[2:3]
	v_mul_f64 v[2:3], v[34:35], s[2:3]
	v_fma_f64 v[6:7], v[12:13], v[6:7], -v[14:15]
	v_mul_f64 v[12:13], v[26:27], v[38:39]
	v_mul_f64 v[14:15], v[26:27], v[36:37]
	v_mad_u64_u32 v[32:33], s[4:5], s0, v174, v[42:43]
	s_sub_i32 s4, s1, s0
	v_mov_b32_e32 v26, s6
	v_add_u32_e32 v33, s4, v33
	global_store_dwordx4 v[32:33], v[0:3], off
	s_nop 0
	v_mul_f64 v[0:1], v[4:5], s[2:3]
	v_mul_f64 v[2:3], v[6:7], s[2:3]
	v_fma_f64 v[4:5], v[24:25], v[36:37], v[12:13]
	v_fma_f64 v[6:7], v[24:25], v[38:39], -v[14:15]
	v_mul_f64 v[12:13], v[22:23], v[46:47]
	v_mul_f64 v[14:15], v[22:23], v[44:45]
	v_add_co_u32_e32 v22, vcc, s7, v32
	v_addc_co_u32_e32 v23, vcc, v33, v26, vcc
	global_store_dwordx4 v[22:23], v[0:3], off
	v_mov_b32_e32 v24, s6
	v_mul_f64 v[0:1], v[4:5], s[2:3]
	v_mul_f64 v[2:3], v[6:7], s[2:3]
	ds_read_b128 v[4:7], v173 offset:31104
	v_fma_f64 v[12:13], v[20:21], v[44:45], v[12:13]
	v_fma_f64 v[14:15], v[20:21], v[46:47], -v[14:15]
	s_waitcnt lgkmcnt(1)
	v_mul_f64 v[20:21], v[18:19], v[10:11]
	v_mul_f64 v[18:19], v[18:19], v[8:9]
	v_add_co_u32_e32 v22, vcc, s7, v22
	v_addc_co_u32_e32 v23, vcc, v23, v24, vcc
	s_waitcnt lgkmcnt(0)
	v_mul_f64 v[24:25], v[30:31], v[6:7]
	v_mul_f64 v[26:27], v[30:31], v[4:5]
	v_fma_f64 v[8:9], v[16:17], v[8:9], v[20:21]
	v_fma_f64 v[10:11], v[16:17], v[10:11], -v[18:19]
	v_mul_f64 v[12:13], v[12:13], s[2:3]
	v_mul_f64 v[14:15], v[14:15], s[2:3]
	global_store_dwordx4 v[22:23], v[0:3], off
	v_mad_u64_u32 v[16:17], s[0:1], s0, v174, v[22:23]
	v_fma_f64 v[4:5], v[28:29], v[4:5], v[24:25]
	v_fma_f64 v[6:7], v[28:29], v[6:7], -v[26:27]
	v_mul_f64 v[0:1], v[8:9], s[2:3]
	v_mul_f64 v[2:3], v[10:11], s[2:3]
	v_add_u32_e32 v17, s4, v17
	v_mov_b32_e32 v9, s6
	v_add_co_u32_e32 v8, vcc, s7, v16
	v_mul_f64 v[4:5], v[4:5], s[2:3]
	v_mul_f64 v[6:7], v[6:7], s[2:3]
	v_addc_co_u32_e32 v9, vcc, v17, v9, vcc
	global_store_dwordx4 v[16:17], v[12:15], off
	global_store_dwordx4 v[8:9], v[0:3], off
	s_nop 0
	v_mov_b32_e32 v1, s6
	v_add_co_u32_e32 v0, vcc, s7, v8
	v_addc_co_u32_e32 v1, vcc, v9, v1, vcc
	global_store_dwordx4 v[0:1], v[4:7], off
.LBB0_2:
	s_endpgm
	.section	.rodata,"a",@progbits
	.p2align	6, 0x0
	.amdhsa_kernel bluestein_single_fwd_len2187_dim1_dp_op_CI_CI
		.amdhsa_group_segment_fixed_size 34992
		.amdhsa_private_segment_fixed_size 0
		.amdhsa_kernarg_size 104
		.amdhsa_user_sgpr_count 6
		.amdhsa_user_sgpr_private_segment_buffer 1
		.amdhsa_user_sgpr_dispatch_ptr 0
		.amdhsa_user_sgpr_queue_ptr 0
		.amdhsa_user_sgpr_kernarg_segment_ptr 1
		.amdhsa_user_sgpr_dispatch_id 0
		.amdhsa_user_sgpr_flat_scratch_init 0
		.amdhsa_user_sgpr_private_segment_size 0
		.amdhsa_uses_dynamic_stack 0
		.amdhsa_system_sgpr_private_segment_wavefront_offset 0
		.amdhsa_system_sgpr_workgroup_id_x 1
		.amdhsa_system_sgpr_workgroup_id_y 0
		.amdhsa_system_sgpr_workgroup_id_z 0
		.amdhsa_system_sgpr_workgroup_info 0
		.amdhsa_system_vgpr_workitem_id 0
		.amdhsa_next_free_vgpr 246
		.amdhsa_next_free_sgpr 20
		.amdhsa_reserve_vcc 1
		.amdhsa_reserve_flat_scratch 0
		.amdhsa_float_round_mode_32 0
		.amdhsa_float_round_mode_16_64 0
		.amdhsa_float_denorm_mode_32 3
		.amdhsa_float_denorm_mode_16_64 3
		.amdhsa_dx10_clamp 1
		.amdhsa_ieee_mode 1
		.amdhsa_fp16_overflow 0
		.amdhsa_exception_fp_ieee_invalid_op 0
		.amdhsa_exception_fp_denorm_src 0
		.amdhsa_exception_fp_ieee_div_zero 0
		.amdhsa_exception_fp_ieee_overflow 0
		.amdhsa_exception_fp_ieee_underflow 0
		.amdhsa_exception_fp_ieee_inexact 0
		.amdhsa_exception_int_div_zero 0
	.end_amdhsa_kernel
	.text
.Lfunc_end0:
	.size	bluestein_single_fwd_len2187_dim1_dp_op_CI_CI, .Lfunc_end0-bluestein_single_fwd_len2187_dim1_dp_op_CI_CI
                                        ; -- End function
	.section	.AMDGPU.csdata,"",@progbits
; Kernel info:
; codeLenInByte = 13004
; NumSgprs: 24
; NumVgprs: 246
; ScratchSize: 0
; MemoryBound: 0
; FloatMode: 240
; IeeeMode: 1
; LDSByteSize: 34992 bytes/workgroup (compile time only)
; SGPRBlocks: 2
; VGPRBlocks: 61
; NumSGPRsForWavesPerEU: 24
; NumVGPRsForWavesPerEU: 246
; Occupancy: 1
; WaveLimiterHint : 1
; COMPUTE_PGM_RSRC2:SCRATCH_EN: 0
; COMPUTE_PGM_RSRC2:USER_SGPR: 6
; COMPUTE_PGM_RSRC2:TRAP_HANDLER: 0
; COMPUTE_PGM_RSRC2:TGID_X_EN: 1
; COMPUTE_PGM_RSRC2:TGID_Y_EN: 0
; COMPUTE_PGM_RSRC2:TGID_Z_EN: 0
; COMPUTE_PGM_RSRC2:TIDIG_COMP_CNT: 0
	.type	__hip_cuid_145dda9440d07c8b,@object ; @__hip_cuid_145dda9440d07c8b
	.section	.bss,"aw",@nobits
	.globl	__hip_cuid_145dda9440d07c8b
__hip_cuid_145dda9440d07c8b:
	.byte	0                               ; 0x0
	.size	__hip_cuid_145dda9440d07c8b, 1

	.ident	"AMD clang version 19.0.0git (https://github.com/RadeonOpenCompute/llvm-project roc-6.4.0 25133 c7fe45cf4b819c5991fe208aaa96edf142730f1d)"
	.section	".note.GNU-stack","",@progbits
	.addrsig
	.addrsig_sym __hip_cuid_145dda9440d07c8b
	.amdgpu_metadata
---
amdhsa.kernels:
  - .args:
      - .actual_access:  read_only
        .address_space:  global
        .offset:         0
        .size:           8
        .value_kind:     global_buffer
      - .actual_access:  read_only
        .address_space:  global
        .offset:         8
        .size:           8
        .value_kind:     global_buffer
      - .actual_access:  read_only
        .address_space:  global
        .offset:         16
        .size:           8
        .value_kind:     global_buffer
      - .actual_access:  read_only
        .address_space:  global
        .offset:         24
        .size:           8
        .value_kind:     global_buffer
      - .actual_access:  read_only
        .address_space:  global
        .offset:         32
        .size:           8
        .value_kind:     global_buffer
      - .offset:         40
        .size:           8
        .value_kind:     by_value
      - .address_space:  global
        .offset:         48
        .size:           8
        .value_kind:     global_buffer
      - .address_space:  global
        .offset:         56
        .size:           8
        .value_kind:     global_buffer
      - .address_space:  global
        .offset:         64
        .size:           8
        .value_kind:     global_buffer
      - .address_space:  global
        .offset:         72
        .size:           8
        .value_kind:     global_buffer
      - .offset:         80
        .size:           4
        .value_kind:     by_value
      - .address_space:  global
        .offset:         88
        .size:           8
        .value_kind:     global_buffer
      - .address_space:  global
        .offset:         96
        .size:           8
        .value_kind:     global_buffer
    .group_segment_fixed_size: 34992
    .kernarg_segment_align: 8
    .kernarg_segment_size: 104
    .language:       OpenCL C
    .language_version:
      - 2
      - 0
    .max_flat_workgroup_size: 243
    .name:           bluestein_single_fwd_len2187_dim1_dp_op_CI_CI
    .private_segment_fixed_size: 0
    .sgpr_count:     24
    .sgpr_spill_count: 0
    .symbol:         bluestein_single_fwd_len2187_dim1_dp_op_CI_CI.kd
    .uniform_work_group_size: 1
    .uses_dynamic_stack: false
    .vgpr_count:     246
    .vgpr_spill_count: 0
    .wavefront_size: 64
amdhsa.target:   amdgcn-amd-amdhsa--gfx906
amdhsa.version:
  - 1
  - 2
...

	.end_amdgpu_metadata
